;; amdgpu-corpus repo=ROCm/rocFFT kind=compiled arch=gfx906 opt=O3
	.text
	.amdgcn_target "amdgcn-amd-amdhsa--gfx906"
	.amdhsa_code_object_version 6
	.protected	fft_rtc_fwd_len935_factors_17_11_5_wgs_255_tpt_85_halfLds_half_op_CI_CI_sbrr_dirReg ; -- Begin function fft_rtc_fwd_len935_factors_17_11_5_wgs_255_tpt_85_halfLds_half_op_CI_CI_sbrr_dirReg
	.globl	fft_rtc_fwd_len935_factors_17_11_5_wgs_255_tpt_85_halfLds_half_op_CI_CI_sbrr_dirReg
	.p2align	8
	.type	fft_rtc_fwd_len935_factors_17_11_5_wgs_255_tpt_85_halfLds_half_op_CI_CI_sbrr_dirReg,@function
fft_rtc_fwd_len935_factors_17_11_5_wgs_255_tpt_85_halfLds_half_op_CI_CI_sbrr_dirReg: ; @fft_rtc_fwd_len935_factors_17_11_5_wgs_255_tpt_85_halfLds_half_op_CI_CI_sbrr_dirReg
; %bb.0:
	s_load_dwordx4 s[16:19], s[4:5], 0x18
	s_load_dwordx4 s[8:11], s[4:5], 0x0
	;; [unrolled: 1-line block ×3, first 2 shown]
	v_mul_u32_u24_e32 v1, 0x304, v0
	v_lshrrev_b32_e32 v1, 16, v1
	s_waitcnt lgkmcnt(0)
	s_load_dwordx2 s[22:23], s[16:17], 0x0
	s_load_dwordx2 s[20:21], s[18:19], 0x0
	v_mad_u64_u32 v[1:2], s[0:1], s6, 3, v[1:2]
	v_mov_b32_e32 v5, 0
	v_mov_b32_e32 v3, 0
	;; [unrolled: 1-line block ×3, first 2 shown]
	v_cmp_lt_u64_e64 s[0:1], s[10:11], 2
	v_mov_b32_e32 v4, 0
	v_mov_b32_e32 v8, v4
	;; [unrolled: 1-line block ×3, first 2 shown]
	s_and_b64 vcc, exec, s[0:1]
	v_mov_b32_e32 v7, v3
	v_mov_b32_e32 v9, v1
	s_cbranch_vccnz .LBB0_8
; %bb.1:
	s_load_dwordx2 s[0:1], s[4:5], 0x10
	s_add_u32 s2, s18, 8
	s_addc_u32 s3, s19, 0
	s_add_u32 s6, s16, 8
	v_mov_b32_e32 v3, 0
	s_addc_u32 s7, s17, 0
	v_mov_b32_e32 v4, 0
	s_waitcnt lgkmcnt(0)
	s_add_u32 s24, s0, 8
	v_mov_b32_e32 v8, v4
	v_mov_b32_e32 v12, v2
	s_addc_u32 s25, s1, 0
	s_mov_b64 s[26:27], 1
	v_mov_b32_e32 v7, v3
	v_mov_b32_e32 v11, v1
.LBB0_2:                                ; =>This Inner Loop Header: Depth=1
	s_load_dwordx2 s[28:29], s[24:25], 0x0
                                        ; implicit-def: $vgpr9_vgpr10
	s_waitcnt lgkmcnt(0)
	v_or_b32_e32 v6, s29, v12
	v_cmp_ne_u64_e32 vcc, 0, v[5:6]
	s_and_saveexec_b64 s[0:1], vcc
	s_xor_b64 s[30:31], exec, s[0:1]
	s_cbranch_execz .LBB0_4
; %bb.3:                                ;   in Loop: Header=BB0_2 Depth=1
	v_cvt_f32_u32_e32 v2, s28
	v_cvt_f32_u32_e32 v6, s29
	s_sub_u32 s0, 0, s28
	s_subb_u32 s1, 0, s29
	v_mac_f32_e32 v2, 0x4f800000, v6
	v_rcp_f32_e32 v2, v2
	v_mul_f32_e32 v2, 0x5f7ffffc, v2
	v_mul_f32_e32 v6, 0x2f800000, v2
	v_trunc_f32_e32 v6, v6
	v_mac_f32_e32 v2, 0xcf800000, v6
	v_cvt_u32_f32_e32 v6, v6
	v_cvt_u32_f32_e32 v2, v2
	v_mul_lo_u32 v9, s0, v6
	v_mul_hi_u32 v10, s0, v2
	v_mul_lo_u32 v14, s1, v2
	v_mul_lo_u32 v13, s0, v2
	v_add_u32_e32 v9, v10, v9
	v_add_u32_e32 v9, v9, v14
	v_mul_hi_u32 v10, v2, v13
	v_mul_lo_u32 v14, v2, v9
	v_mul_hi_u32 v16, v2, v9
	v_mul_hi_u32 v15, v6, v13
	v_mul_lo_u32 v13, v6, v13
	v_mul_hi_u32 v17, v6, v9
	v_add_co_u32_e32 v10, vcc, v10, v14
	v_addc_co_u32_e32 v14, vcc, 0, v16, vcc
	v_mul_lo_u32 v9, v6, v9
	v_add_co_u32_e32 v10, vcc, v10, v13
	v_addc_co_u32_e32 v10, vcc, v14, v15, vcc
	v_addc_co_u32_e32 v13, vcc, 0, v17, vcc
	v_add_co_u32_e32 v9, vcc, v10, v9
	v_addc_co_u32_e32 v10, vcc, 0, v13, vcc
	v_add_co_u32_e32 v2, vcc, v2, v9
	v_addc_co_u32_e32 v6, vcc, v6, v10, vcc
	v_mul_lo_u32 v9, s0, v6
	v_mul_hi_u32 v10, s0, v2
	v_mul_lo_u32 v13, s1, v2
	v_mul_lo_u32 v14, s0, v2
	v_add_u32_e32 v9, v10, v9
	v_add_u32_e32 v9, v9, v13
	v_mul_lo_u32 v15, v2, v9
	v_mul_hi_u32 v16, v2, v14
	v_mul_hi_u32 v17, v2, v9
	;; [unrolled: 1-line block ×3, first 2 shown]
	v_mul_lo_u32 v14, v6, v14
	v_mul_hi_u32 v10, v6, v9
	v_add_co_u32_e32 v15, vcc, v16, v15
	v_addc_co_u32_e32 v16, vcc, 0, v17, vcc
	v_mul_lo_u32 v9, v6, v9
	v_add_co_u32_e32 v14, vcc, v15, v14
	v_addc_co_u32_e32 v13, vcc, v16, v13, vcc
	v_addc_co_u32_e32 v10, vcc, 0, v10, vcc
	v_add_co_u32_e32 v9, vcc, v13, v9
	v_addc_co_u32_e32 v10, vcc, 0, v10, vcc
	v_add_co_u32_e32 v2, vcc, v2, v9
	v_addc_co_u32_e32 v6, vcc, v6, v10, vcc
	v_mad_u64_u32 v[9:10], s[0:1], v11, v6, 0
	v_mul_hi_u32 v13, v11, v2
	v_add_co_u32_e32 v15, vcc, v13, v9
	v_addc_co_u32_e32 v16, vcc, 0, v10, vcc
	v_mad_u64_u32 v[9:10], s[0:1], v12, v2, 0
	v_mad_u64_u32 v[13:14], s[0:1], v12, v6, 0
	v_add_co_u32_e32 v2, vcc, v15, v9
	v_addc_co_u32_e32 v2, vcc, v16, v10, vcc
	v_addc_co_u32_e32 v6, vcc, 0, v14, vcc
	v_add_co_u32_e32 v2, vcc, v2, v13
	v_addc_co_u32_e32 v6, vcc, 0, v6, vcc
	v_mul_lo_u32 v13, s29, v2
	v_mul_lo_u32 v14, s28, v6
	v_mad_u64_u32 v[9:10], s[0:1], s28, v2, 0
	v_add3_u32 v10, v10, v14, v13
	v_sub_u32_e32 v13, v12, v10
	v_mov_b32_e32 v14, s29
	v_sub_co_u32_e32 v9, vcc, v11, v9
	v_subb_co_u32_e64 v13, s[0:1], v13, v14, vcc
	v_subrev_co_u32_e64 v14, s[0:1], s28, v9
	v_subbrev_co_u32_e64 v13, s[0:1], 0, v13, s[0:1]
	v_cmp_le_u32_e64 s[0:1], s29, v13
	v_cndmask_b32_e64 v15, 0, -1, s[0:1]
	v_cmp_le_u32_e64 s[0:1], s28, v14
	v_cndmask_b32_e64 v14, 0, -1, s[0:1]
	v_cmp_eq_u32_e64 s[0:1], s29, v13
	v_cndmask_b32_e64 v13, v15, v14, s[0:1]
	v_add_co_u32_e64 v14, s[0:1], 2, v2
	v_addc_co_u32_e64 v15, s[0:1], 0, v6, s[0:1]
	v_add_co_u32_e64 v16, s[0:1], 1, v2
	v_addc_co_u32_e64 v17, s[0:1], 0, v6, s[0:1]
	v_subb_co_u32_e32 v10, vcc, v12, v10, vcc
	v_cmp_ne_u32_e64 s[0:1], 0, v13
	v_cmp_le_u32_e32 vcc, s29, v10
	v_cndmask_b32_e64 v13, v17, v15, s[0:1]
	v_cndmask_b32_e64 v15, 0, -1, vcc
	v_cmp_le_u32_e32 vcc, s28, v9
	v_cndmask_b32_e64 v9, 0, -1, vcc
	v_cmp_eq_u32_e32 vcc, s29, v10
	v_cndmask_b32_e32 v9, v15, v9, vcc
	v_cmp_ne_u32_e32 vcc, 0, v9
	v_cndmask_b32_e32 v10, v6, v13, vcc
	v_cndmask_b32_e64 v6, v16, v14, s[0:1]
	v_cndmask_b32_e32 v9, v2, v6, vcc
.LBB0_4:                                ;   in Loop: Header=BB0_2 Depth=1
	s_andn2_saveexec_b64 s[0:1], s[30:31]
	s_cbranch_execz .LBB0_6
; %bb.5:                                ;   in Loop: Header=BB0_2 Depth=1
	v_cvt_f32_u32_e32 v2, s28
	s_sub_i32 s30, 0, s28
	v_rcp_iflag_f32_e32 v2, v2
	v_mul_f32_e32 v2, 0x4f7ffffe, v2
	v_cvt_u32_f32_e32 v2, v2
	v_mul_lo_u32 v6, s30, v2
	v_mul_hi_u32 v6, v2, v6
	v_add_u32_e32 v2, v2, v6
	v_mul_hi_u32 v2, v11, v2
	v_mul_lo_u32 v6, v2, s28
	v_add_u32_e32 v9, 1, v2
	v_sub_u32_e32 v6, v11, v6
	v_subrev_u32_e32 v10, s28, v6
	v_cmp_le_u32_e32 vcc, s28, v6
	v_cndmask_b32_e32 v6, v6, v10, vcc
	v_cndmask_b32_e32 v2, v2, v9, vcc
	v_add_u32_e32 v9, 1, v2
	v_cmp_le_u32_e32 vcc, s28, v6
	v_cndmask_b32_e32 v9, v2, v9, vcc
	v_mov_b32_e32 v10, v5
.LBB0_6:                                ;   in Loop: Header=BB0_2 Depth=1
	s_or_b64 exec, exec, s[0:1]
	v_mul_lo_u32 v2, v10, s28
	v_mul_lo_u32 v6, v9, s29
	v_mad_u64_u32 v[13:14], s[0:1], v9, s28, 0
	s_load_dwordx2 s[0:1], s[6:7], 0x0
	s_load_dwordx2 s[28:29], s[2:3], 0x0
	v_add3_u32 v2, v14, v6, v2
	v_sub_co_u32_e32 v6, vcc, v11, v13
	v_subb_co_u32_e32 v2, vcc, v12, v2, vcc
	s_waitcnt lgkmcnt(0)
	v_mul_lo_u32 v11, s0, v2
	v_mul_lo_u32 v12, s1, v6
	v_mad_u64_u32 v[3:4], s[0:1], s0, v6, v[3:4]
	s_add_u32 s26, s26, 1
	s_addc_u32 s27, s27, 0
	s_add_u32 s2, s2, 8
	v_mul_lo_u32 v2, s28, v2
	v_mul_lo_u32 v13, s29, v6
	v_mad_u64_u32 v[7:8], s[0:1], s28, v6, v[7:8]
	v_add3_u32 v4, v12, v4, v11
	s_addc_u32 s3, s3, 0
	v_mov_b32_e32 v12, s11
	s_add_u32 s6, s6, 8
	v_mov_b32_e32 v11, s10
	s_addc_u32 s7, s7, 0
	v_cmp_ge_u64_e32 vcc, s[26:27], v[11:12]
	s_add_u32 s24, s24, 8
	v_add3_u32 v8, v13, v8, v2
	s_addc_u32 s25, s25, 0
	s_cbranch_vccnz .LBB0_8
; %bb.7:                                ;   in Loop: Header=BB0_2 Depth=1
	v_mov_b32_e32 v12, v10
	v_mov_b32_e32 v11, v9
	s_branch .LBB0_2
.LBB0_8:
	s_load_dwordx2 s[0:1], s[4:5], 0x28
	s_mov_b32 s4, 0x3030304
	v_mul_hi_u32 v2, v0, s4
	s_lshl_b64 s[2:3], s[10:11], 3
	s_add_u32 s4, s18, s2
	s_waitcnt lgkmcnt(0)
	v_cmp_gt_u64_e32 vcc, s[0:1], v[9:10]
	v_mul_u32_u24_e32 v2, 0x55, v2
	v_sub_u32_e32 v13, v0, v2
	v_cmp_gt_u32_e64 s[0:1], 55, v13
	s_addc_u32 s5, s19, s3
	s_and_b64 s[10:11], vcc, s[0:1]
	v_mov_b32_e32 v18, 0
	v_mov_b32_e32 v0, 0
                                        ; implicit-def: $vgpr19
                                        ; implicit-def: $vgpr5
                                        ; implicit-def: $vgpr20
                                        ; implicit-def: $vgpr6
                                        ; implicit-def: $vgpr21
                                        ; implicit-def: $vgpr12
                                        ; implicit-def: $vgpr22
                                        ; implicit-def: $vgpr14
                                        ; implicit-def: $vgpr23
                                        ; implicit-def: $vgpr15
                                        ; implicit-def: $vgpr24
                                        ; implicit-def: $vgpr16
                                        ; implicit-def: $vgpr25
                                        ; implicit-def: $vgpr17
                                        ; implicit-def: $vgpr26
                                        ; implicit-def: $vgpr35
                                        ; implicit-def: $vgpr27
                                        ; implicit-def: $vgpr43
                                        ; implicit-def: $vgpr28
                                        ; implicit-def: $vgpr42
                                        ; implicit-def: $vgpr29
                                        ; implicit-def: $vgpr41
                                        ; implicit-def: $vgpr30
                                        ; implicit-def: $vgpr40
                                        ; implicit-def: $vgpr31
                                        ; implicit-def: $vgpr39
                                        ; implicit-def: $vgpr32
                                        ; implicit-def: $vgpr38
                                        ; implicit-def: $vgpr33
                                        ; implicit-def: $vgpr37
                                        ; implicit-def: $vgpr34
                                        ; implicit-def: $vgpr36
	s_and_saveexec_b64 s[6:7], s[10:11]
	s_cbranch_execz .LBB0_10
; %bb.9:
	s_add_u32 s2, s16, s2
	s_addc_u32 s3, s17, s3
	s_load_dwordx2 s[2:3], s[2:3], 0x0
	v_mad_u64_u32 v[5:6], s[10:11], s22, v13, 0
	v_add_u32_e32 v17, 0xa5, v13
	v_mov_b32_e32 v0, v6
	s_waitcnt lgkmcnt(0)
	v_mul_lo_u32 v2, s3, v9
	v_mul_lo_u32 v16, s2, v10
	v_mad_u64_u32 v[11:12], s[2:3], s2, v9, 0
	v_mad_u64_u32 v[14:15], s[2:3], s23, v13, v[0:1]
	v_add3_u32 v12, v12, v16, v2
	v_lshlrev_b64 v[11:12], 2, v[11:12]
	v_mov_b32_e32 v6, v14
	v_mov_b32_e32 v0, s13
	v_add_co_u32_e64 v14, s[2:3], s12, v11
	v_lshlrev_b64 v[2:3], 2, v[3:4]
	v_add_u32_e32 v4, 55, v13
	v_addc_co_u32_e64 v0, s[2:3], v0, v12, s[2:3]
	v_mad_u64_u32 v[11:12], s[2:3], s22, v4, 0
	v_add_co_u32_e64 v43, s[2:3], v14, v2
	v_addc_co_u32_e64 v44, s[2:3], v0, v3, s[2:3]
	v_mov_b32_e32 v0, v12
	v_lshlrev_b64 v[2:3], 2, v[5:6]
	v_mad_u64_u32 v[4:5], s[2:3], s23, v4, v[0:1]
	v_add_u32_e32 v14, 0x6e, v13
	v_mad_u64_u32 v[5:6], s[2:3], s22, v14, 0
	v_add_co_u32_e64 v2, s[2:3], v43, v2
	v_mov_b32_e32 v0, v6
	v_addc_co_u32_e64 v3, s[2:3], v44, v3, s[2:3]
	v_mad_u64_u32 v[14:15], s[2:3], s23, v14, v[0:1]
	v_mov_b32_e32 v12, v4
	v_mad_u64_u32 v[15:16], s[2:3], s22, v17, 0
	v_lshlrev_b64 v[11:12], 2, v[11:12]
	v_mov_b32_e32 v6, v14
	v_add_co_u32_e64 v18, s[2:3], v43, v11
	v_lshlrev_b64 v[4:5], 2, v[5:6]
	v_add_u32_e32 v6, 0xdc, v13
	v_addc_co_u32_e64 v19, s[2:3], v44, v12, s[2:3]
	v_mov_b32_e32 v0, v16
	v_mad_u64_u32 v[20:21], s[2:3], s22, v6, 0
	v_mad_u64_u32 v[11:12], s[2:3], s23, v17, v[0:1]
	v_add_co_u32_e64 v22, s[2:3], v43, v4
	v_mov_b32_e32 v0, v21
	v_addc_co_u32_e64 v23, s[2:3], v44, v5, s[2:3]
	v_mov_b32_e32 v16, v11
	v_mad_u64_u32 v[11:12], s[2:3], s23, v6, v[0:1]
	v_add_u32_e32 v6, 0x113, v13
	v_lshlrev_b64 v[4:5], 2, v[15:16]
	v_mad_u64_u32 v[14:15], s[2:3], s22, v6, 0
	v_add_co_u32_e64 v24, s[2:3], v43, v4
	v_mov_b32_e32 v0, v15
	v_addc_co_u32_e64 v25, s[2:3], v44, v5, s[2:3]
	v_mov_b32_e32 v21, v11
	v_mad_u64_u32 v[11:12], s[2:3], s23, v6, v[0:1]
	v_add_u32_e32 v6, 0x14a, v13
	v_mad_u64_u32 v[16:17], s[2:3], s22, v6, 0
	v_lshlrev_b64 v[4:5], 2, v[20:21]
	v_mov_b32_e32 v15, v11
	v_add_co_u32_e64 v20, s[2:3], v43, v4
	v_mov_b32_e32 v0, v17
	v_addc_co_u32_e64 v21, s[2:3], v44, v5, s[2:3]
	v_mad_u64_u32 v[11:12], s[2:3], s23, v6, v[0:1]
	v_add_u32_e32 v6, 0x181, v13
	v_lshlrev_b64 v[4:5], 2, v[14:15]
	v_mad_u64_u32 v[14:15], s[2:3], s22, v6, 0
	v_add_co_u32_e64 v26, s[2:3], v43, v4
	v_mov_b32_e32 v17, v11
	v_mov_b32_e32 v0, v15
	v_addc_co_u32_e64 v27, s[2:3], v44, v5, s[2:3]
	v_lshlrev_b64 v[4:5], 2, v[16:17]
	v_mad_u64_u32 v[11:12], s[2:3], s23, v6, v[0:1]
	v_add_co_u32_e64 v28, s[2:3], v43, v4
	v_add_u32_e32 v6, 0x1b8, v13
	v_addc_co_u32_e64 v29, s[2:3], v44, v5, s[2:3]
	v_mad_u64_u32 v[30:31], s[2:3], s22, v6, 0
	v_mov_b32_e32 v15, v11
	v_lshlrev_b64 v[4:5], 2, v[14:15]
	v_mov_b32_e32 v0, v31
	v_add_co_u32_e64 v32, s[2:3], v43, v4
	v_addc_co_u32_e64 v33, s[2:3], v44, v5, s[2:3]
	v_mad_u64_u32 v[4:5], s[2:3], s23, v6, v[0:1]
	global_load_dword v0, v[2:3], off
	global_load_dword v5, v[18:19], off
	;; [unrolled: 1-line block ×8, first 2 shown]
	v_add_u32_e32 v11, 0x1ef, v13
	v_mad_u64_u32 v[34:35], s[2:3], s22, v11, 0
	v_mov_b32_e32 v31, v4
	v_lshlrev_b64 v[2:3], 2, v[30:31]
	v_mov_b32_e32 v4, v35
	s_waitcnt vmcnt(6)
	v_mad_u64_u32 v[18:19], s[2:3], s23, v11, v[4:5]
	v_add_u32_e32 v11, 0x226, v13
	v_mad_u64_u32 v[19:20], s[2:3], s22, v11, 0
	v_add_co_u32_e64 v2, s[2:3], v43, v2
	v_mov_b32_e32 v4, v20
	v_addc_co_u32_e64 v3, s[2:3], v44, v3, s[2:3]
	v_mad_u64_u32 v[23:24], s[2:3], s23, v11, v[4:5]
	v_add_u32_e32 v11, 0x25d, v13
	v_mad_u64_u32 v[24:25], s[2:3], s22, v11, 0
	v_mov_b32_e32 v35, v18
	v_lshlrev_b64 v[21:22], 2, v[34:35]
	v_mov_b32_e32 v4, v25
	v_add_co_u32_e64 v21, s[2:3], v43, v21
	v_addc_co_u32_e64 v22, s[2:3], v44, v22, s[2:3]
	v_mad_u64_u32 v[25:26], s[2:3], s23, v11, v[4:5]
	v_add_u32_e32 v11, 0x294, v13
	v_mad_u64_u32 v[26:27], s[2:3], s22, v11, 0
	v_mov_b32_e32 v20, v23
	v_lshlrev_b64 v[18:19], 2, v[19:20]
	v_mov_b32_e32 v4, v27
	v_add_co_u32_e64 v18, s[2:3], v43, v18
	v_addc_co_u32_e64 v19, s[2:3], v44, v19, s[2:3]
	v_mad_u64_u32 v[27:28], s[2:3], s23, v11, v[4:5]
	v_add_u32_e32 v11, 0x2cb, v13
	v_mad_u64_u32 v[28:29], s[2:3], s22, v11, 0
	v_lshlrev_b64 v[23:24], 2, v[24:25]
	v_lshlrev_b64 v[25:26], 2, v[26:27]
	v_add_co_u32_e64 v23, s[2:3], v43, v23
	v_mov_b32_e32 v4, v29
	v_addc_co_u32_e64 v24, s[2:3], v44, v24, s[2:3]
	v_mad_u64_u32 v[29:30], s[2:3], s23, v11, v[4:5]
	v_add_u32_e32 v11, 0x302, v13
	v_mad_u64_u32 v[30:31], s[2:3], s22, v11, 0
	v_add_co_u32_e64 v25, s[2:3], v43, v25
	v_mov_b32_e32 v4, v31
	v_addc_co_u32_e64 v26, s[2:3], v44, v26, s[2:3]
	v_mad_u64_u32 v[31:32], s[2:3], s23, v11, v[4:5]
	v_add_u32_e32 v11, 0x339, v13
	v_mad_u64_u32 v[32:33], s[2:3], s22, v11, 0
	v_lshlrev_b64 v[27:28], 2, v[28:29]
	v_lshlrev_b64 v[29:30], 2, v[30:31]
	v_add_co_u32_e64 v27, s[2:3], v43, v27
	v_mov_b32_e32 v4, v33
	v_addc_co_u32_e64 v28, s[2:3], v44, v28, s[2:3]
	v_mad_u64_u32 v[33:34], s[2:3], s23, v11, v[4:5]
	v_add_co_u32_e64 v29, s[2:3], v43, v29
	v_add_u32_e32 v11, 0x370, v13
	v_addc_co_u32_e64 v30, s[2:3], v44, v30, s[2:3]
	v_lshlrev_b64 v[31:32], 2, v[32:33]
	v_mad_u64_u32 v[33:34], s[2:3], s22, v11, 0
	v_add_co_u32_e64 v31, s[2:3], v43, v31
	v_mov_b32_e32 v4, v34
	v_addc_co_u32_e64 v32, s[2:3], v44, v32, s[2:3]
	v_mad_u64_u32 v[34:35], s[2:3], s23, v11, v[4:5]
	global_load_dword v35, v[2:3], off
	global_load_dword v36, v[21:22], off
	;; [unrolled: 1-line block ×8, first 2 shown]
	v_lshrrev_b32_e32 v18, 16, v0
	v_lshlrev_b64 v[2:3], 2, v[33:34]
	v_lshrrev_b32_e32 v19, 16, v5
	v_add_co_u32_e64 v2, s[2:3], v43, v2
	v_addc_co_u32_e64 v3, s[2:3], v44, v3, s[2:3]
	global_load_dword v43, v[2:3], off
	s_waitcnt vmcnt(14)
	v_lshrrev_b32_e32 v20, 16, v6
	s_waitcnt vmcnt(13)
	v_lshrrev_b32_e32 v21, 16, v12
	;; [unrolled: 2-line block ×15, first 2 shown]
.LBB0_10:
	s_or_b64 exec, exec, s[6:7]
	s_mov_b32 s2, 0xaaaaaaab
	v_mul_hi_u32 v2, v1, s2
	v_add_f16_e32 v68, v5, v43
	s_mov_b32 s6, 0x37222de8
	v_sub_f16_e32 v3, v19, v27
	v_lshrrev_b32_e32 v2, 1, v2
	v_add_f16_e32 v67, v6, v42
	v_lshl_add_u32 v2, v2, 1, v2
	v_pk_mul_f16 v55, v68, s6 op_sel_hi:[0,1]
	s_mov_b32 s28, 0xbb29bbf7
	s_mov_b32 s7, 0xb8d2bbdd
	v_sub_u32_e32 v11, v1, v2
	v_sub_f16_e32 v4, v20, v28
	v_add_f16_e32 v69, v12, v41
	v_pk_fma_f16 v1, v3, s28, v55 op_sel_hi:[0,1,1]
	v_pk_mul_f16 v53, v67, s7 op_sel_hi:[0,1]
	s_mov_b32 s29, 0xba62b1e1
	s_mov_b32 s10, 0xbbddb461
	v_sub_f16_e32 v44, v21, v29
	v_pk_add_f16 v1, v0, v1 op_sel_hi:[0,1]
	v_pk_fma_f16 v2, v4, s29, v53 op_sel_hi:[0,1,1]
	v_pk_mul_f16 v52, v69, s10 op_sel_hi:[0,1]
	s_mov_b32 s30, 0x31e13bb2
	s_mov_b32 s11, 0xb4613b76
	v_add_f16_e32 v70, v14, v40
	v_pk_add_f16 v1, v1, v2
	v_pk_fma_f16 v2, v44, s30, v52 op_sel_hi:[0,1,1]
	s_mov_b32 s31, 0x3bb235c8
	v_sub_f16_e32 v50, v22, v30
	v_pk_mul_f16 v57, v70, s11 op_sel_hi:[0,1]
	s_mov_b32 s12, 0x39e93722
	v_add_f16_e32 v71, v15, v39
	v_pk_add_f16 v1, v1, v2
	v_pk_fma_f16 v2, v50, s31, v57 op_sel_hi:[0,1,1]
	s_mov_b32 s33, 0x3964bb29
	v_sub_f16_e32 v56, v23, v31
	v_pk_mul_f16 v45, v71, s12 op_sel_hi:[0,1]
	;; [unrolled: 7-line block ×4, first 2 shown]
	s_mov_b32 s17, 0xb461b8d2
	v_pk_add_f16 v1, v1, v2
	v_pk_fma_f16 v2, v62, s35, v47 op_sel_hi:[0,1,1]
	s_mov_b32 s37, 0xbbb2ba62
	v_pk_mul_f16 v48, v68, s17 op_sel_hi:[0,1]
	s_mov_b32 s18, 0xbacdb461
	v_pk_add_f16 v1, v1, v2
	v_pk_fma_f16 v2, v3, s37, v48 op_sel_hi:[0,1,1]
	s_mov_b32 s38, 0x38363bb2
	v_pk_mul_f16 v49, v67, s18 op_sel_hi:[0,1]
	v_pk_add_f16 v2, v0, v2 op_sel_hi:[0,1]
	v_pk_fma_f16 v51, v4, s38, v49 op_sel_hi:[0,1,1]
	s_mov_b32 s19, 0x39e93b76
	v_pk_add_f16 v2, v2, v51
	s_mov_b32 s39, 0x3964b5c8
	v_pk_mul_f16 v51, v69, s19 op_sel_hi:[0,1]
	v_pk_fma_f16 v54, v44, s39, v51 op_sel_hi:[0,1,1]
	s_mov_b32 s22, 0x3722bacd
	v_pk_add_f16 v2, v2, v54
	s_mov_b32 s40, 0xbb29b836
	v_pk_mul_f16 v54, v70, s22 op_sel_hi:[0,1]
	;; [unrolled: 5-line block ×5, first 2 shown]
	v_pk_fma_f16 v63, v62, s43, v61 op_sel_hi:[0,1,1]
	s_mov_b32 s27, 0xbacd39e9
	s_mov_b32 s26, 0xb8d23722
	v_add_f16_e32 v66, v35, v36
	v_pk_add_f16 v74, v2, v63
	s_mov_b32 s45, 0xb8363964
	s_mov_b32 s44, 0xba623b29
	v_sub_f16_e32 v65, v26, v34
	v_pk_mul_f16 v64, v66, s27 op_sel_hi:[0,1]
	v_pk_mul_f16 v63, v66, s26 op_sel_hi:[0,1]
	v_pk_fma_f16 v2, v65, s45, v64 op_sel_hi:[0,1,1]
	v_pk_fma_f16 v75, v65, s44, v63 op_sel_hi:[0,1,1]
	v_mul_u32_u24_e32 v11, 0x3a7, v11
	v_pk_add_f16 v2, v1, v2
	v_pk_add_f16 v1, v74, v75
	s_mov_b32 s36, 0x5040100
	v_lshlrev_b32_e32 v11, 1, v11
	s_and_saveexec_b64 s[2:3], s[0:1]
	s_cbranch_execz .LBB0_12
; %bb.11:
	v_perm_b32 v76, v0, v0, s36
	v_add_f16_e32 v0, v0, v5
	v_add_f16_e32 v0, v0, v6
	;; [unrolled: 1-line block ×14, first 2 shown]
	v_pack_b32_f16 v68, v68, v68
	v_add_f16_e32 v0, v42, v0
	v_mul_u32_u24_e32 v90, 34, v13
	v_pack_b32_f16 v74, v3, v3
	v_pack_b32_f16 v67, v67, v67
	v_pk_mul_f16 v83, v68, s19
	s_mov_b32 s46, 0xb964b5c8
	v_add_f16_e32 v0, v43, v0
	v_add3_u32 v90, 0, v90, v11
	v_pack_b32_f16 v77, v4, v4
	v_pack_b32_f16 v69, v69, v69
	v_pk_mul_f16 v84, v67, s24
	s_mov_b32 s47, 0xbbf7b964
	ds_write_b16 v90, v0
	v_pk_fma_f16 v0, v74, s46, v83 neg_lo:[1,0,0] neg_hi:[1,0,0]
	v_pack_b32_f16 v78, v44, v44
	v_pack_b32_f16 v70, v70, v70
	v_pk_mul_f16 v85, v69, s26
	s_mov_b32 s48, 0xba62bb29
	v_pk_add_f16 v0, v76, v0
	v_pk_fma_f16 v91, v77, s47, v84 neg_lo:[1,0,0] neg_hi:[1,0,0]
	v_pack_b32_f16 v79, v50, v50
	v_pack_b32_f16 v71, v71, v71
	v_pk_mul_f16 v86, v70, s23
	s_mov_b32 s49, 0xb1e1bbf7
	v_pk_add_f16 v0, v0, v91
	;; [unrolled: 6-line block ×4, first 2 shown]
	v_pk_fma_f16 v91, v80, s50, v87 neg_lo:[1,0,0] neg_hi:[1,0,0]
	v_pack_b32_f16 v82, v62, v62
	v_pk_mul_f16 v89, v73, s22
	s_mov_b32 s52, 0x3b29b836
	v_pk_add_f16 v0, v0, v91
	v_pk_fma_f16 v91, v81, s51, v88 neg_lo:[1,0,0] neg_hi:[1,0,0]
	v_pk_mul_f16 v75, v3, s28 op_sel_hi:[0,1]
	v_pk_add_f16 v0, v0, v91
	v_pk_fma_f16 v91, v82, s52, v89 neg_lo:[1,0,0] neg_hi:[1,0,0]
	v_pk_add_f16 v0, v0, v91
	v_pk_mul_f16 v91, v4, s29 op_sel_hi:[0,1]
	v_pk_add_f16 v55, v55, v75 neg_lo:[0,1] neg_hi:[0,1]
	v_pk_mul_f16 v75, v44, s30 op_sel_hi:[0,1]
	v_pk_add_f16 v53, v53, v91 neg_lo:[0,1] neg_hi:[0,1]
	v_pk_add_f16 v55, v76, v55
	v_pk_mul_f16 v91, v50, s31 op_sel_hi:[0,1]
	v_pk_add_f16 v53, v55, v53
	v_pk_add_f16 v52, v52, v75 neg_lo:[0,1] neg_hi:[0,1]
	v_pk_mul_f16 v55, v56, s33 op_sel_hi:[0,1]
	v_pk_add_f16 v52, v53, v52
	v_pack_b32_f16 v66, v66, v66
	v_pk_add_f16 v57, v57, v91 neg_lo:[0,1] neg_hi:[0,1]
	s_mov_b32 s60, 0x2de8b461
	v_pk_mul_f16 v75, v60, s34 op_sel_hi:[0,1]
	v_pack_b32_f16 v91, v65, v65
	v_pk_add_f16 v52, v52, v57
	v_pk_mul_f16 v92, v44, s39 op_sel_hi:[0,1]
	v_pk_add_f16 v44, v45, v55 neg_lo:[0,1] neg_hi:[0,1]
	v_pk_mul_f16 v55, v66, s60
	v_pk_mul_f16 v66, v66, s25
	s_mov_b32 s61, 0x35c8b1e1
	v_pk_mul_f16 v53, v62, s35 op_sel_hi:[0,1]
	v_pk_add_f16 v44, v52, v44
	v_pk_fma_f16 v45, v91, s61, v66 neg_lo:[1,0,0] neg_hi:[1,0,0]
	v_pk_add_f16 v46, v46, v75 neg_lo:[0,1] neg_hi:[0,1]
	v_pk_mul_f16 v57, v65, s45 op_sel_hi:[0,1]
	v_pk_add_f16 v46, v44, v46
	v_pk_add_f16 v44, v0, v45
	v_pk_add_f16 v0, v47, v53 neg_lo:[0,1] neg_hi:[0,1]
	v_pk_add_f16 v0, v46, v0
	v_pk_add_f16 v45, v64, v57 neg_lo:[0,1] neg_hi:[0,1]
	v_pk_mul_f16 v3, v3, s37 op_sel_hi:[0,1]
	v_pk_add_f16 v0, v0, v45
	v_pk_mul_f16 v4, v4, s38 op_sel_hi:[0,1]
	v_alignbit_b32 v45, v0, v0, 16
	v_pk_add_f16 v0, v48, v3 neg_lo:[0,1] neg_hi:[0,1]
	v_pk_add_f16 v0, v76, v0
	v_pk_add_f16 v3, v49, v4 neg_lo:[0,1] neg_hi:[0,1]
	v_pk_mul_f16 v50, v50, s40 op_sel_hi:[0,1]
	v_pk_add_f16 v0, v0, v3
	v_pk_add_f16 v3, v51, v92 neg_lo:[0,1] neg_hi:[0,1]
	v_pk_mul_f16 v56, v56, s41 op_sel_hi:[0,1]
	v_pk_add_f16 v0, v0, v3
	v_pk_add_f16 v3, v54, v50 neg_lo:[0,1] neg_hi:[0,1]
	v_pk_mul_f16 v60, v60, s42 op_sel_hi:[0,1]
	v_pk_add_f16 v0, v0, v3
	v_pk_add_f16 v3, v58, v56 neg_lo:[0,1] neg_hi:[0,1]
	v_pk_mul_f16 v62, v62, s43 op_sel_hi:[0,1]
	v_pk_add_f16 v0, v0, v3
	v_pk_add_f16 v3, v59, v60 neg_lo:[0,1] neg_hi:[0,1]
	v_pk_mul_f16 v65, v65, s44 op_sel_hi:[0,1]
	v_pk_add_f16 v0, v0, v3
	v_pk_add_f16 v3, v61, v62 neg_lo:[0,1] neg_hi:[0,1]
	s_mov_b32 s53, 0xbbddbacd
	v_pk_add_f16 v0, v0, v3
	v_pk_add_f16 v3, v63, v65 neg_lo:[0,1] neg_hi:[0,1]
	v_pk_mul_f16 v68, v68, s53
	s_mov_b32 s53, 0xb1e1b836
	s_mov_b32 s54, 0x3b763722
	v_pk_add_f16 v0, v0, v3
	v_pk_mul_f16 v67, v67, s54
	s_mov_b32 s54, 0x35c83b29
	s_mov_b32 s55, 0xbacd2de8
	v_alignbit_b32 v46, v0, v0, 16
	v_pk_fma_f16 v0, v74, s53, v68 neg_lo:[1,0,0] neg_hi:[1,0,0]
	v_pk_mul_f16 v69, v69, s55
	s_mov_b32 s55, 0xb836bbf7
	s_mov_b32 s56, 0x39e9b8d2
	v_pk_add_f16 v0, v76, v0
	v_pk_fma_f16 v3, v77, s54, v67 neg_lo:[1,0,0] neg_hi:[1,0,0]
	v_pk_mul_f16 v70, v70, s56
	s_mov_b32 s56, 0x39643a62
	s_mov_b32 s57, 0xb8d23b76
	v_pk_add_f16 v0, v0, v3
	;; [unrolled: 5-line block ×4, first 2 shown]
	v_pk_fma_f16 v3, v80, s57, v71 neg_lo:[1,0,0] neg_hi:[1,0,0]
	v_pk_mul_f16 v73, v73, s59
	s_mov_b32 s59, 0xbbb23964
	v_pk_add_f16 v0, v0, v3
	v_pk_fma_f16 v3, v81, s58, v72 neg_lo:[1,0,0] neg_hi:[1,0,0]
	s_mov_b32 s60, 0x3bf7bbb2
	v_pk_add_f16 v0, v0, v3
	v_pk_fma_f16 v3, v82, s59, v73 neg_lo:[1,0,0] neg_hi:[1,0,0]
	v_pk_add_f16 v0, v0, v3
	v_pk_fma_f16 v3, v91, s60, v55 neg_lo:[1,0,0] neg_hi:[1,0,0]
	v_pk_add_f16 v47, v0, v3
	v_pk_fma_f16 v0, v74, s53, v68
	v_pk_add_f16 v0, v76, v0
	v_pk_fma_f16 v3, v77, s54, v67
	;; [unrolled: 2-line block ×16, first 2 shown]
	v_pk_add_f16 v3, v3, v4
	v_alignbit_b32 v0, v0, v0, 16
	v_alignbit_b32 v3, v3, v3, 16
	ds_write_b128 v90, v[44:47] offset:2
	ds_write_b128 v90, v[0:3] offset:18
.LBB0_12:
	s_or_b64 exec, exec, s[2:3]
	v_sub_f16_e32 v72, v5, v43
	v_add_f16_e32 v57, v19, v27
	v_sub_f16_e32 v65, v6, v42
	v_pk_mul_f16 v6, v72, s28 op_sel_hi:[0,1]
	v_add_f16_e32 v58, v20, v28
	v_sub_f16_e32 v66, v12, v41
	v_pk_fma_f16 v0, v57, s6, v6 op_sel_hi:[0,1,1] neg_lo:[0,0,1] neg_hi:[0,0,1]
	v_pk_mul_f16 v42, v65, s29 op_sel_hi:[0,1]
	v_add_f16_e32 v59, v21, v29
	v_sub_f16_e32 v67, v14, v40
	v_pk_add_f16 v0, v18, v0 op_sel_hi:[0,1]
	v_pk_fma_f16 v3, v58, s7, v42 op_sel_hi:[0,1,1] neg_lo:[0,0,1] neg_hi:[0,0,1]
	v_pk_mul_f16 v43, v66, s30 op_sel_hi:[0,1]
	v_add_f16_e32 v60, v22, v30
	v_sub_f16_e32 v68, v15, v39
	v_pk_add_f16 v0, v0, v3
	v_pk_fma_f16 v3, v59, s10, v43 op_sel_hi:[0,1,1] neg_lo:[0,0,1] neg_hi:[0,0,1]
	v_pk_mul_f16 v44, v67, s31 op_sel_hi:[0,1]
	v_add_f16_e32 v61, v23, v31
	v_sub_f16_e32 v69, v16, v38
	v_pk_add_f16 v0, v0, v3
	;; [unrolled: 5-line block ×4, first 2 shown]
	v_pk_fma_f16 v3, v62, s13, v46 op_sel_hi:[0,1,1] neg_lo:[0,0,1] neg_hi:[0,0,1]
	v_pk_mul_f16 v47, v70, s35 op_sel_hi:[0,1]
	v_add_f16_e32 v64, v26, v34
	v_pk_add_f16 v0, v0, v3
	v_pk_fma_f16 v3, v63, s16, v47 op_sel_hi:[0,1,1] neg_lo:[0,0,1] neg_hi:[0,0,1]
	v_pk_mul_f16 v48, v71, s45 op_sel_hi:[0,1]
	v_pk_add_f16 v0, v0, v3
	v_pk_fma_f16 v3, v64, s27, v48 op_sel_hi:[0,1,1] neg_lo:[0,0,1] neg_hi:[0,0,1]
	v_pk_mul_f16 v49, v72, s37 op_sel_hi:[0,1]
	;; [unrolled: 3-line block ×3, first 2 shown]
	v_pk_add_f16 v0, v18, v0 op_sel_hi:[0,1]
	v_pk_fma_f16 v3, v58, s18, v50 op_sel_hi:[0,1,1] neg_lo:[0,0,1] neg_hi:[0,0,1]
	v_pk_mul_f16 v51, v66, s39 op_sel_hi:[0,1]
	v_pk_add_f16 v0, v0, v3
	v_pk_fma_f16 v3, v59, s19, v51 op_sel_hi:[0,1,1] neg_lo:[0,0,1] neg_hi:[0,0,1]
	v_pk_mul_f16 v52, v67, s40 op_sel_hi:[0,1]
	v_pk_add_f16 v0, v0, v3
	;; [unrolled: 3-line block ×5, first 2 shown]
	v_pk_fma_f16 v3, v63, s25, v55 op_sel_hi:[0,1,1] neg_lo:[0,0,1] neg_hi:[0,0,1]
	v_pk_add_f16 v4, v0, v3
	v_lshlrev_b32_e32 v0, 1, v13
	v_add3_u32 v14, 0, v11, v0
	v_add_u32_e32 v3, 0, v0
	s_waitcnt lgkmcnt(0)
	s_barrier
	v_add_u32_e32 v12, v3, v11
	ds_read_u16 v0, v14
	ds_read_u16 v41, v12 offset:170
	ds_read_u16 v40, v12 offset:340
	;; [unrolled: 1-line block ×10, first 2 shown]
	v_pk_mul_f16 v56, v71, s44 op_sel_hi:[0,1]
	v_pk_fma_f16 v73, v64, s26, v56 op_sel_hi:[0,1,1] neg_lo:[0,0,1] neg_hi:[0,0,1]
	v_pk_add_f16 v4, v4, v73
	s_waitcnt lgkmcnt(0)
	s_barrier
	s_and_saveexec_b64 s[2:3], s[0:1]
	s_cbranch_execz .LBB0_14
; %bb.13:
	v_perm_b32 v74, v18, v18, s36
	v_add_f16_e32 v18, v18, v19
	v_add_f16_e32 v18, v18, v20
	;; [unrolled: 1-line block ×13, first 2 shown]
	v_pack_b32_f16 v72, v72, v72
	v_add_f16_e32 v18, v29, v18
	s_mov_b32 s1, 0xb964b5c8
	v_pack_b32_f16 v73, v57, v57
	v_pack_b32_f16 v65, v65, v65
	v_pk_mul_f16 v82, v57, s6 op_sel_hi:[0,1]
	v_add_f16_e32 v18, v28, v18
	s_mov_b32 s0, 0x39e93b76
	v_pk_mul_f16 v20, v72, s1
	s_mov_b32 s6, 0xbbf7b964
	v_pack_b32_f16 v75, v58, v58
	v_add_f16_e32 v19, v27, v18
	v_pk_fma_f16 v18, v73, s0, v20
	s_mov_b32 s1, 0x2de839e9
	v_pk_mul_f16 v21, v65, s6
	v_pack_b32_f16 v66, v66, v66
	v_pk_mul_f16 v83, v58, s7 op_sel_hi:[0,1]
	v_pk_add_f16 v18, v74, v18
	v_pk_fma_f16 v22, v75, s1, v21
	s_mov_b32 s7, 0xba62bb29
	v_pack_b32_f16 v76, v59, v59
	v_pk_add_f16 v18, v18, v22
	s_mov_b32 s6, 0xb8d23722
	v_pk_mul_f16 v22, v66, s7
	v_pack_b32_f16 v67, v67, v67
	v_pk_mul_f16 v84, v59, s10 op_sel_hi:[0,1]
	v_pk_fma_f16 v23, v76, s6, v22
	s_mov_b32 s10, 0xb1e1bbf7
	v_pack_b32_f16 v77, v60, v60
	v_pk_add_f16 v18, v18, v23
	s_mov_b32 s7, 0xbbdd2de8
	v_pk_mul_f16 v23, v67, s10
	v_pack_b32_f16 v68, v68, v68
	v_pk_mul_f16 v85, v60, s11 op_sel_hi:[0,1]
	v_pk_fma_f16 v24, v77, s7, v23
	s_mov_b32 s11, 0x3836bbb2
	v_pack_b32_f16 v78, v61, v61
	v_pk_add_f16 v18, v18, v24
	s_mov_b32 s10, 0xbacdb461
	v_pk_mul_f16 v24, v68, s11
	v_pk_fma_f16 v20, v73, s0, v20 neg_lo:[0,0,1] neg_hi:[0,0,1]
	v_pack_b32_f16 v69, v69, v69
	v_pk_mul_f16 v86, v61, s12 op_sel_hi:[0,1]
	v_pk_fma_f16 v25, v78, s10, v24
	s_mov_b32 s12, 0x3bb2ba62
	v_pk_add_f16 v20, v74, v20
	v_pk_fma_f16 v21, v75, s1, v21 neg_lo:[0,0,1] neg_hi:[0,0,1]
	v_pack_b32_f16 v79, v62, v62
	v_pk_add_f16 v18, v18, v25
	s_mov_b32 s11, 0xb461b8d2
	v_pk_mul_f16 v25, v69, s12
	v_pk_add_f16 v20, v20, v21
	v_pk_fma_f16 v21, v76, s6, v22 neg_lo:[0,0,1] neg_hi:[0,0,1]
	v_pack_b32_f16 v70, v70, v70
	v_pk_mul_f16 v87, v62, s13 op_sel_hi:[0,1]
	v_pk_fma_f16 v26, v79, s11, v25
	s_mov_b32 s13, 0x3b29b836
	v_pk_add_f16 v20, v20, v21
	v_pk_fma_f16 v21, v77, s7, v23 neg_lo:[0,0,1] neg_hi:[0,0,1]
	v_pack_b32_f16 v80, v63, v63
	v_pk_add_f16 v18, v18, v26
	s_mov_b32 s12, 0x3722bacd
	v_pk_mul_f16 v26, v70, s13
	v_pk_add_f16 v20, v20, v21
	;; [unrolled: 12-line block ×3, first 2 shown]
	v_pk_fma_f16 v21, v80, s12, v26 neg_lo:[0,0,1] neg_hi:[0,0,1]
	v_pk_add_f16 v20, v20, v21
	v_pk_fma_f16 v21, v81, s13, v27 neg_lo:[0,0,1] neg_hi:[0,0,1]
	v_pk_add_f16 v6, v82, v6
	v_pk_add_f16 v22, v20, v21
	;; [unrolled: 1-line block ×12, first 2 shown]
	v_pk_mul_f16 v89, v64, s27 op_sel_hi:[0,1]
	v_pk_add_f16 v6, v6, v20
	v_pk_add_f16 v20, v88, v47
	v_pk_mul_f16 v57, v57, s17 op_sel_hi:[0,1]
	v_pk_add_f16 v6, v6, v20
	v_pk_add_f16 v20, v89, v48
	;; [unrolled: 3-line block ×9, first 2 shown]
	s_mov_b32 s1, 0xb1e1b836
	v_pk_add_f16 v20, v20, v21
	v_pk_add_f16 v21, v64, v56
	s_mov_b32 s0, 0xbbddbacd
	v_pk_mul_f16 v23, v72, s1
	s_mov_b32 s6, 0x35c83b29
	v_pk_add_f16 v20, v20, v21
	v_pk_fma_f16 v21, v73, s0, v23
	s_mov_b32 s1, 0x3b763722
	v_pk_mul_f16 v24, v65, s6
	v_pk_add_f16 v21, v74, v21
	v_pk_fma_f16 v25, v75, s1, v24
	s_mov_b32 s7, 0xb836bbf7
	v_pk_add_f16 v21, v21, v25
	s_mov_b32 s6, 0xbacd2de8
	v_pk_mul_f16 v25, v66, s7
	v_pk_fma_f16 v26, v76, s6, v25
	s_mov_b32 s10, 0x39643a62
	v_pk_add_f16 v21, v21, v26
	s_mov_b32 s7, 0x39e9b8d2
	v_pk_mul_f16 v26, v67, s10
	v_pk_fma_f16 v28, v81, s13, v27
	v_pk_fma_f16 v27, v77, s7, v26
	s_mov_b32 s11, 0xba62b5c8
	v_pk_add_f16 v21, v21, v27
	s_mov_b32 s10, 0xb8d23b76
	v_pk_mul_f16 v27, v68, s11
	v_pk_fma_f16 v23, v73, s0, v23 neg_lo:[0,0,1] neg_hi:[0,0,1]
	v_pk_add_f16 v18, v18, v28
	v_pk_fma_f16 v28, v78, s10, v27
	s_mov_b32 s12, 0x3b29b1e1
	v_pk_add_f16 v23, v74, v23
	v_pk_fma_f16 v24, v75, s1, v24 neg_lo:[0,0,1] neg_hi:[0,0,1]
	v_pk_add_f16 v21, v21, v28
	s_mov_b32 s11, 0x3722bbdd
	v_pk_mul_f16 v28, v69, s12
	v_pk_add_f16 v23, v23, v24
	v_pk_fma_f16 v24, v76, s6, v25 neg_lo:[0,0,1] neg_hi:[0,0,1]
	v_pk_fma_f16 v29, v79, s11, v28
	s_mov_b32 s13, 0xbbb23964
	v_pk_add_f16 v23, v23, v24
	v_pk_fma_f16 v24, v77, s7, v26 neg_lo:[0,0,1] neg_hi:[0,0,1]
	v_pk_add_f16 v21, v21, v29
	s_mov_b32 s12, 0xb46139e9
	v_pk_mul_f16 v29, v70, s13
	v_pk_add_f16 v23, v23, v24
	v_pk_fma_f16 v24, v78, s10, v27 neg_lo:[0,0,1] neg_hi:[0,0,1]
	;; [unrolled: 9-line block ×3, first 2 shown]
	v_pk_add_f16 v23, v23, v24
	v_pk_fma_f16 v24, v81, s13, v30 neg_lo:[0,0,1] neg_hi:[0,0,1]
	v_pk_add_f16 v23, v23, v24
	v_lshlrev_b32_e32 v24, 5, v13
	v_pk_fma_f16 v31, v81, s13, v30
	v_add3_u32 v24, v3, v24, v11
	v_pk_add_f16 v21, v21, v31
	ds_write_b16 v24, v19
	v_alignbit_b32 v19, v6, v6, 16
	v_alignbit_b32 v20, v20, v20, 16
	;; [unrolled: 1-line block ×4, first 2 shown]
	ds_write_b128 v24, v[18:21] offset:2
	ds_write_b128 v24, v[3:6] offset:18
.LBB0_14:
	s_or_b64 exec, exec, s[2:3]
	s_movk_i32 s0, 0xf1
	v_mul_lo_u16_sdwa v3, v13, s0 dst_sel:DWORD dst_unused:UNUSED_PAD src0_sel:BYTE_0 src1_sel:DWORD
	v_lshrrev_b16_e32 v6, 12, v3
	v_mul_lo_u16_e32 v3, 17, v6
	v_sub_u16_e32 v48, v13, v3
	v_mov_b32_e32 v3, 10
	v_mul_u32_u24_sdwa v3, v48, v3 dst_sel:DWORD dst_unused:UNUSED_PAD src0_sel:BYTE_0 src1_sel:DWORD
	v_lshlrev_b32_e32 v3, 2, v3
	s_load_dwordx2 s[2:3], s[4:5], 0x0
	s_waitcnt lgkmcnt(0)
	s_barrier
	global_load_dwordx4 v[18:21], v3, s[8:9]
	global_load_dwordx4 v[44:47], v3, s[8:9] offset:16
	global_load_dwordx2 v[22:23], v3, s[8:9] offset:32
	ds_read_u16 v26, v14
	ds_read_u16 v3, v12 offset:170
	ds_read_u16 v24, v12 offset:340
	;; [unrolled: 1-line block ×10, first 2 shown]
	s_movk_i32 s10, 0x3abb
	s_movk_i32 s6, 0x36a6
	s_mov_b32 s7, 0xb08e
	s_mov_b32 s11, 0xb93d
	;; [unrolled: 1-line block ×3, first 2 shown]
	s_movk_i32 s0, 0x176
	v_mad_u32_u24 v6, v6, s0, 0
	s_waitcnt vmcnt(0) lgkmcnt(0)
	s_barrier
	v_cmp_gt_u32_e64 s[0:1], 17, v13
	v_mul_f16_sdwa v29, v41, v18 dst_sel:DWORD dst_unused:UNUSED_PAD src0_sel:DWORD src1_sel:WORD_1
	v_mul_f16_sdwa v32, v24, v19 dst_sel:DWORD dst_unused:UNUSED_PAD src0_sel:DWORD src1_sel:WORD_1
	v_mul_f16_sdwa v52, v25, v20 dst_sel:DWORD dst_unused:UNUSED_PAD src0_sel:DWORD src1_sel:WORD_1
	v_mul_f16_sdwa v67, v15, v23 dst_sel:DWORD dst_unused:UNUSED_PAD src0_sel:DWORD src1_sel:WORD_1
	v_mul_f16_sdwa v28, v3, v18 dst_sel:DWORD dst_unused:UNUSED_PAD src0_sel:DWORD src1_sel:WORD_1
	v_mul_f16_sdwa v33, v40, v19 dst_sel:DWORD dst_unused:UNUSED_PAD src0_sel:DWORD src1_sel:WORD_1
	v_mul_f16_sdwa v53, v39, v20 dst_sel:DWORD dst_unused:UNUSED_PAD src0_sel:DWORD src1_sel:WORD_1
	v_mul_f16_sdwa v54, v27, v21 dst_sel:DWORD dst_unused:UNUSED_PAD src0_sel:DWORD src1_sel:WORD_1
	v_mul_f16_sdwa v55, v38, v21 dst_sel:DWORD dst_unused:UNUSED_PAD src0_sel:DWORD src1_sel:WORD_1
	v_mul_f16_sdwa v59, v36, v45 dst_sel:DWORD dst_unused:UNUSED_PAD src0_sel:DWORD src1_sel:WORD_1
	v_mul_f16_sdwa v61, v35, v46 dst_sel:DWORD dst_unused:UNUSED_PAD src0_sel:DWORD src1_sel:WORD_1
	v_mul_f16_sdwa v62, v49, v47 dst_sel:DWORD dst_unused:UNUSED_PAD src0_sel:DWORD src1_sel:WORD_1
	v_mul_f16_sdwa v66, v51, v23 dst_sel:DWORD dst_unused:UNUSED_PAD src0_sel:DWORD src1_sel:WORD_1
	v_fma_f16 v43, v3, v18, v29
	v_fma_f16 v40, v40, v19, -v32
	v_fma_f16 v32, v39, v20, -v52
	v_fma_f16 v39, v51, v23, v67
	v_mul_f16_sdwa v56, v30, v44 dst_sel:DWORD dst_unused:UNUSED_PAD src0_sel:DWORD src1_sel:WORD_1
	v_mul_f16_sdwa v58, v31, v45 dst_sel:DWORD dst_unused:UNUSED_PAD src0_sel:DWORD src1_sel:WORD_1
	;; [unrolled: 1-line block ×6, first 2 shown]
	v_fma_f16 v42, v41, v18, -v28
	v_fma_f16 v28, v38, v21, -v54
	v_fma_f16 v29, v27, v21, v55
	v_fma_f16 v27, v31, v45, v59
	;; [unrolled: 1-line block ×3, first 2 shown]
	v_fma_f16 v34, v17, v47, -v62
	v_fma_f16 v38, v15, v23, -v66
	v_sub_f16_e32 v17, v43, v39
	v_mul_f16_sdwa v57, v37, v44 dst_sel:DWORD dst_unused:UNUSED_PAD src0_sel:DWORD src1_sel:WORD_1
	v_fma_f16 v41, v24, v19, v33
	v_fma_f16 v33, v25, v20, v53
	v_fma_f16 v3, v37, v44, -v56
	v_fma_f16 v25, v36, v45, -v58
	;; [unrolled: 1-line block ×3, first 2 shown]
	v_fma_f16 v37, v50, v22, v65
	v_add_f16_e32 v16, v42, v38
	v_mul_f16_e32 v18, 0xb853, v17
	v_mul_f16_e32 v19, 0xbb47, v17
	v_mul_f16_e32 v20, 0xbbeb, v17
	v_mul_f16_e32 v21, 0xba0c, v17
	v_mul_f16_e32 v17, 0xb482, v17
	v_fma_f16 v24, v30, v44, v57
	v_fma_f16 v30, v35, v46, -v60
	v_fma_f16 v22, v16, s10, -v18
	v_fma_f16 v18, v16, s10, v18
	v_fma_f16 v23, v16, s6, -v19
	v_fma_f16 v19, v16, s6, v19
	;; [unrolled: 2-line block ×5, first 2 shown]
	v_sub_f16_e32 v17, v41, v37
	v_fma_f16 v35, v49, v47, v63
	v_add_f16_e32 v15, v0, v42
	v_add_f16_e32 v22, v0, v22
	;; [unrolled: 1-line block ×12, first 2 shown]
	v_mul_f16_e32 v47, 0xbb47, v17
	v_fma_f16 v49, v16, s6, -v47
	v_fma_f16 v47, v16, s6, v47
	v_add_f16_e32 v18, v47, v18
	v_mul_f16_e32 v47, 0xba0c, v17
	v_add_f16_e32 v22, v49, v22
	v_fma_f16 v49, v16, s11, -v47
	v_fma_f16 v47, v16, s11, v47
	v_add_f16_e32 v19, v47, v19
	v_mul_f16_e32 v47, 0x3482, v17
	v_add_f16_e32 v23, v49, v23
	;; [unrolled: 5-line block ×3, first 2 shown]
	v_fma_f16 v49, v16, s7, -v47
	v_fma_f16 v47, v16, s7, v47
	v_mul_f16_e32 v17, 0x3853, v17
	v_add_f16_e32 v21, v47, v21
	v_fma_f16 v47, v16, s10, -v17
	v_fma_f16 v16, v16, s10, v17
	v_sub_f16_e32 v17, v33, v35
	v_add_f16_e32 v46, v47, v46
	v_add_f16_e32 v0, v16, v0
	;; [unrolled: 1-line block ×3, first 2 shown]
	v_mul_f16_e32 v47, 0xbbeb, v17
	v_add_f16_e32 v45, v49, v45
	v_fma_f16 v49, v16, s7, -v47
	v_fma_f16 v47, v16, s7, v47
	v_add_f16_e32 v18, v47, v18
	v_mul_f16_e32 v47, 0x3482, v17
	v_add_f16_e32 v22, v49, v22
	v_fma_f16 v49, v16, s12, -v47
	v_fma_f16 v47, v16, s12, v47
	v_add_f16_e32 v19, v47, v19
	;; [unrolled: 5-line block ×3, first 2 shown]
	v_mul_f16_e32 v47, 0xb853, v17
	v_add_f16_e32 v44, v49, v44
	v_fma_f16 v49, v16, s10, -v47
	v_fma_f16 v47, v16, s10, v47
	v_mul_f16_e32 v17, 0xba0c, v17
	v_add_f16_e32 v21, v47, v21
	v_fma_f16 v47, v16, s11, -v17
	v_fma_f16 v16, v16, s11, v17
	v_sub_f16_e32 v17, v29, v31
	v_add_f16_e32 v46, v47, v46
	v_add_f16_e32 v0, v16, v0
	v_add_f16_e32 v16, v28, v30
	v_mul_f16_e32 v47, 0xba0c, v17
	v_add_f16_e32 v45, v49, v45
	v_fma_f16 v49, v16, s11, -v47
	v_fma_f16 v47, v16, s11, v47
	v_add_f16_e32 v18, v47, v18
	v_mul_f16_e32 v47, 0x3beb, v17
	v_add_f16_e32 v22, v49, v22
	v_fma_f16 v49, v16, s7, -v47
	v_fma_f16 v47, v16, s7, v47
	v_add_f16_e32 v19, v47, v19
	;; [unrolled: 5-line block ×3, first 2 shown]
	v_mul_f16_e32 v47, 0xb482, v17
	v_add_f16_e32 v44, v49, v44
	v_fma_f16 v49, v16, s12, -v47
	v_fma_f16 v47, v16, s12, v47
	v_mul_f16_e32 v17, 0x3b47, v17
	v_add_f16_e32 v21, v47, v21
	v_fma_f16 v47, v16, s6, -v17
	v_add_f16_e32 v46, v47, v46
	v_fma_f16 v16, v16, s6, v17
	v_sub_f16_e32 v47, v24, v27
	v_add_f16_e32 v16, v16, v0
	v_add_f16_e32 v17, v3, v25
	v_mul_f16_e32 v0, 0xb482, v47
	v_add_f16_e32 v45, v49, v45
	v_fma_f16 v49, v17, s12, -v0
	v_fma_f16 v0, v17, s12, v0
	v_add_f16_e32 v0, v0, v18
	v_mul_f16_e32 v18, 0x3853, v47
	v_add_f16_e32 v22, v49, v22
	v_fma_f16 v49, v17, s10, -v18
	v_fma_f16 v18, v17, s10, v18
	v_add_f16_e32 v15, v15, v40
	v_add_f16_e32 v18, v18, v19
	v_mul_f16_e32 v19, 0xba0c, v47
	v_add_f16_e32 v15, v15, v32
	v_add_f16_e32 v23, v49, v23
	v_fma_f16 v49, v17, s11, -v19
	v_fma_f16 v19, v17, s11, v19
	v_add_f16_e32 v15, v15, v28
	v_add_f16_e32 v19, v19, v20
	v_mul_f16_e32 v20, 0x3b47, v47
	v_add_f16_e32 v15, v15, v3
	;; [unrolled: 7-line block ×3, first 2 shown]
	v_fma_f16 v47, v17, s7, -v21
	v_fma_f16 v17, v17, s7, v21
	v_add_f16_e32 v15, v15, v34
	v_add_f16_e32 v16, v17, v16
	v_mov_b32_e32 v17, 1
	v_add_f16_e32 v15, v15, v36
	v_lshlrev_b32_sdwa v17, v17, v48 dst_sel:DWORD dst_unused:UNUSED_PAD src0_sel:DWORD src1_sel:BYTE_0
	v_add_f16_e32 v15, v15, v38
	v_add3_u32 v11, v6, v17, v11
	v_add_f16_e32 v45, v49, v45
	v_add_f16_e32 v46, v47, v46
	ds_write_b16 v11, v15
	ds_write_b16 v11, v22 offset:34
	ds_write_b16 v11, v23 offset:68
	;; [unrolled: 1-line block ×10, first 2 shown]
	s_waitcnt lgkmcnt(0)
	s_barrier
	ds_read_u16 v6, v14
	ds_read_u16 v20, v12 offset:1292
	ds_read_u16 v15, v12 offset:1122
	;; [unrolled: 1-line block ×9, first 2 shown]
	s_and_saveexec_b64 s[4:5], s[0:1]
	s_cbranch_execz .LBB0_16
; %bb.15:
	ds_read_u16 v1, v12 offset:1462
	ds_read_u16 v2, v12 offset:1836
	;; [unrolled: 1-line block ×5, first 2 shown]
	s_mov_b32 s13, 0x5040100
	s_waitcnt lgkmcnt(3)
	v_perm_b32 v2, v2, v1, s13
	s_waitcnt lgkmcnt(1)
	v_perm_b32 v1, v45, v44, s13
.LBB0_16:
	s_or_b64 exec, exec, s[4:5]
	v_add_f16_e32 v44, v26, v43
	v_add_f16_e32 v44, v44, v41
	;; [unrolled: 1-line block ×9, first 2 shown]
	v_sub_f16_e32 v38, v42, v38
	v_add_f16_e32 v44, v44, v39
	v_add_f16_e32 v39, v43, v39
	v_mul_f16_e32 v42, 0xb853, v38
	v_mul_f16_e32 v45, 0xbb47, v38
	;; [unrolled: 1-line block ×5, first 2 shown]
	v_fma_f16 v43, v39, s10, v42
	v_fma_f16 v42, v39, s10, -v42
	v_fma_f16 v46, v39, s6, v45
	v_fma_f16 v45, v39, s6, -v45
	;; [unrolled: 2-line block ×5, first 2 shown]
	v_sub_f16_e32 v36, v40, v36
	v_add_f16_e32 v43, v26, v43
	v_add_f16_e32 v42, v26, v42
	v_add_f16_e32 v46, v26, v46
	v_add_f16_e32 v45, v26, v45
	v_add_f16_e32 v48, v26, v48
	v_add_f16_e32 v47, v26, v47
	v_add_f16_e32 v50, v26, v50
	v_add_f16_e32 v49, v26, v49
	v_add_f16_e32 v51, v26, v51
	v_add_f16_e32 v26, v26, v38
	v_add_f16_e32 v37, v41, v37
	v_mul_f16_e32 v38, 0xbb47, v36
	v_fma_f16 v39, v37, s6, v38
	v_fma_f16 v38, v37, s6, -v38
	v_mul_f16_e32 v40, 0xba0c, v36
	v_add_f16_e32 v38, v38, v42
	v_fma_f16 v41, v37, s11, v40
	v_fma_f16 v40, v37, s11, -v40
	v_mul_f16_e32 v42, 0x3482, v36
	v_add_f16_e32 v39, v39, v43
	v_add_f16_e32 v40, v40, v45
	v_fma_f16 v43, v37, s12, v42
	v_fma_f16 v42, v37, s12, -v42
	v_mul_f16_e32 v45, 0x3beb, v36
	v_mul_f16_e32 v36, 0x3853, v36
	v_sub_f16_e32 v32, v32, v34
	v_add_f16_e32 v42, v42, v47
	v_fma_f16 v47, v37, s10, v36
	v_fma_f16 v36, v37, s10, -v36
	v_add_f16_e32 v33, v33, v35
	v_mul_f16_e32 v34, 0xbbeb, v32
	v_add_f16_e32 v26, v36, v26
	v_fma_f16 v35, v33, s7, v34
	v_fma_f16 v34, v33, s7, -v34
	v_mul_f16_e32 v36, 0x3482, v32
	v_add_f16_e32 v41, v41, v46
	v_fma_f16 v46, v37, s7, v45
	v_fma_f16 v45, v37, s7, -v45
	v_add_f16_e32 v34, v34, v38
	v_fma_f16 v37, v33, s12, v36
	v_fma_f16 v36, v33, s12, -v36
	v_mul_f16_e32 v38, 0x3b47, v32
	v_add_f16_e32 v35, v35, v39
	v_add_f16_e32 v36, v36, v40
	v_fma_f16 v39, v33, s6, v38
	v_fma_f16 v38, v33, s6, -v38
	v_mul_f16_e32 v40, 0xb853, v32
	v_mul_f16_e32 v32, 0xba0c, v32
	v_sub_f16_e32 v28, v28, v30
	v_add_f16_e32 v38, v38, v42
	v_fma_f16 v42, v33, s11, v32
	v_fma_f16 v32, v33, s11, -v32
	v_add_f16_e32 v29, v29, v31
	v_mul_f16_e32 v30, 0xba0c, v28
	v_add_f16_e32 v26, v32, v26
	v_fma_f16 v31, v29, s11, v30
	v_fma_f16 v30, v29, s11, -v30
	v_mul_f16_e32 v32, 0x3beb, v28
	v_add_f16_e32 v37, v37, v41
	v_fma_f16 v41, v33, s10, v40
	v_fma_f16 v40, v33, s10, -v40
	v_add_f16_e32 v30, v30, v34
	v_fma_f16 v33, v29, s7, v32
	v_fma_f16 v32, v29, s7, -v32
	v_mul_f16_e32 v34, 0xb853, v28
	v_add_f16_e32 v31, v31, v35
	v_add_f16_e32 v32, v32, v36
	v_fma_f16 v35, v29, s10, v34
	v_fma_f16 v34, v29, s10, -v34
	v_mul_f16_e32 v36, 0xb482, v28
	v_mul_f16_e32 v28, 0x3b47, v28
	v_sub_f16_e32 v25, v3, v25
	v_add_f16_e32 v34, v34, v38
	v_fma_f16 v38, v29, s6, v28
	v_fma_f16 v28, v29, s6, -v28
	v_add_f16_e32 v24, v24, v27
	v_mul_f16_e32 v3, 0xb482, v25
	v_add_f16_e32 v26, v28, v26
	v_fma_f16 v27, v24, s12, v3
	v_fma_f16 v3, v24, s12, -v3
	v_mul_f16_e32 v28, 0x3853, v25
	v_add_f16_e32 v43, v43, v48
	v_add_f16_e32 v45, v45, v49
	;; [unrolled: 1-line block ×3, first 2 shown]
	v_fma_f16 v37, v29, s12, v36
	v_fma_f16 v36, v29, s12, -v36
	v_add_f16_e32 v3, v3, v30
	v_fma_f16 v29, v24, s10, v28
	v_fma_f16 v28, v24, s10, -v28
	v_mul_f16_e32 v30, 0xba0c, v25
	v_add_f16_e32 v46, v46, v50
	v_add_f16_e32 v47, v47, v51
	;; [unrolled: 1-line block ×6, first 2 shown]
	v_fma_f16 v31, v24, s11, v30
	v_fma_f16 v30, v24, s11, -v30
	v_mul_f16_e32 v32, 0x3b47, v25
	v_mul_f16_e32 v25, 0xbbeb, v25
	v_add_f16_e32 v41, v41, v46
	v_add_f16_e32 v42, v42, v47
	;; [unrolled: 1-line block ×6, first 2 shown]
	v_fma_f16 v33, v24, s6, v32
	v_fma_f16 v32, v24, s6, -v32
	v_fma_f16 v34, v24, s7, v25
	v_fma_f16 v24, v24, s7, -v25
	v_add_f16_e32 v37, v37, v41
	v_add_f16_e32 v38, v38, v42
	;; [unrolled: 1-line block ×7, first 2 shown]
	s_waitcnt lgkmcnt(0)
	s_barrier
	ds_write_b16 v11, v44
	ds_write_b16 v11, v27 offset:34
	ds_write_b16 v11, v29 offset:68
	;; [unrolled: 1-line block ×10, first 2 shown]
	s_waitcnt lgkmcnt(0)
	s_barrier
	ds_read_u16 v14, v14
	ds_read_u16 v29, v12 offset:1292
	ds_read_u16 v24, v12 offset:1122
	;; [unrolled: 1-line block ×9, first 2 shown]
	s_and_saveexec_b64 s[4:5], s[0:1]
	s_cbranch_execz .LBB0_18
; %bb.17:
	ds_read_u16 v4, v12 offset:1462
	ds_read_u16 v5, v12 offset:1836
	;; [unrolled: 1-line block ×5, first 2 shown]
	s_mov_b32 s6, 0x5040100
	s_waitcnt lgkmcnt(3)
	v_perm_b32 v5, v5, v4, s6
	s_waitcnt lgkmcnt(1)
	v_perm_b32 v4, v33, v11, s6
.LBB0_18:
	s_or_b64 exec, exec, s[4:5]
	s_and_saveexec_b64 s[4:5], vcc
	s_cbranch_execz .LBB0_21
; %bb.19:
	v_add_u32_e32 v41, 0x55, v13
	v_lshlrev_b32_e32 v11, 2, v41
	v_mov_b32_e32 v12, 0
	v_lshlrev_b64 v[33:34], 2, v[11:12]
	v_mov_b32_e32 v37, s9
	v_add_co_u32_e32 v33, vcc, s8, v33
	v_addc_co_u32_e32 v34, vcc, v37, v34, vcc
	global_load_dwordx4 v[33:36], v[33:34], off offset:680
	v_lshlrev_b32_e32 v11, 2, v13
	v_mul_lo_u32 v43, s2, v10
	v_lshlrev_b64 v[10:11], 2, v[11:12]
	v_mul_lo_u32 v42, s3, v9
	v_add_co_u32_e32 v10, vcc, s8, v10
	v_addc_co_u32_e32 v11, vcc, v37, v11, vcc
	global_load_dwordx4 v[37:40], v[10:11], off offset:680
	v_mad_u64_u32 v[9:10], s[2:3], s2, v9, 0
	s_movk_i32 s6, 0x3b9c
	s_movk_i32 s3, 0x38b4
	v_add3_u32 v10, v10, v43, v42
	s_mov_b32 s5, 0xbb9c
	s_movk_i32 s2, 0x34f2
	s_mov_b32 s4, 0xb8b4
	v_lshlrev_b64 v[9:10], 2, v[9:10]
	s_movk_i32 s7, 0x2ec
	s_waitcnt vmcnt(1)
	v_mul_f16_sdwa v11, v21, v34 dst_sel:DWORD dst_unused:UNUSED_PAD src0_sel:DWORD src1_sel:WORD_1
	v_mul_f16_sdwa v42, v22, v33 dst_sel:DWORD dst_unused:UNUSED_PAD src0_sel:DWORD src1_sel:WORD_1
	v_mul_f16_sdwa v44, v23, v36 dst_sel:DWORD dst_unused:UNUSED_PAD src0_sel:DWORD src1_sel:WORD_1
	v_mul_f16_sdwa v43, v20, v35 dst_sel:DWORD dst_unused:UNUSED_PAD src0_sel:DWORD src1_sel:WORD_1
	s_waitcnt lgkmcnt(4)
	v_mul_f16_sdwa v45, v31, v33 dst_sel:DWORD dst_unused:UNUSED_PAD src0_sel:DWORD src1_sel:WORD_1
	s_waitcnt lgkmcnt(0)
	v_mul_f16_sdwa v46, v32, v36 dst_sel:DWORD dst_unused:UNUSED_PAD src0_sel:DWORD src1_sel:WORD_1
	v_mul_f16_sdwa v47, v30, v34 dst_sel:DWORD dst_unused:UNUSED_PAD src0_sel:DWORD src1_sel:WORD_1
	;; [unrolled: 1-line block ×3, first 2 shown]
	v_fma_f16 v11, v30, v34, v11
	v_fma_f16 v30, v31, v33, v42
	;; [unrolled: 1-line block ×4, first 2 shown]
	v_fma_f16 v23, v23, v36, -v46
	v_fma_f16 v21, v21, v34, -v47
	v_fma_f16 v20, v20, v35, -v48
	v_sub_f16_e32 v32, v11, v30
	v_add_f16_e32 v35, v30, v31
	v_sub_f16_e32 v46, v30, v31
	v_sub_f16_e32 v47, v30, v11
	v_add_f16_e32 v30, v28, v30
	v_fma_f16 v22, v22, v33, -v45
	v_sub_f16_e32 v33, v29, v31
	v_sub_f16_e32 v45, v11, v29
	v_add_f16_e32 v49, v11, v29
	v_add_f16_e32 v11, v11, v30
	v_sub_f16_e32 v34, v22, v23
	v_sub_f16_e32 v42, v21, v22
	v_add_f16_e32 v44, v22, v23
	v_sub_f16_e32 v50, v22, v21
	v_add_f16_e32 v22, v19, v22
	v_add_f16_e32 v32, v32, v33
	v_fma_f16 v33, v35, -0.5, v28
	v_fma_f16 v28, v49, -0.5, v28
	v_add_f16_e32 v11, v29, v11
	v_sub_f16_e32 v36, v21, v20
	v_sub_f16_e32 v43, v20, v23
	;; [unrolled: 1-line block ×3, first 2 shown]
	v_add_f16_e32 v52, v21, v20
	v_add_f16_e32 v21, v21, v22
	;; [unrolled: 1-line block ×3, first 2 shown]
	v_fma_f16 v11, v34, s6, v28
	v_sub_f16_e32 v51, v23, v20
	v_add_f16_e32 v35, v42, v43
	v_fma_f16 v42, v44, -0.5, v19
	v_add_f16_e32 v43, v47, v48
	v_fma_f16 v19, v52, -0.5, v19
	v_add_f16_e32 v20, v21, v20
	v_fma_f16 v11, v36, s3, v11
	v_fma_f16 v22, v36, s5, v33
	;; [unrolled: 1-line block ×4, first 2 shown]
	v_add_f16_e32 v20, v20, v23
	v_fma_f16 v23, v43, s2, v11
	v_fma_f16 v11, v46, s5, v19
	v_add_f16_e32 v44, v50, v51
	v_fma_f16 v33, v36, s6, v33
	v_fma_f16 v47, v34, s5, v28
	;; [unrolled: 1-line block ×12, first 2 shown]
	s_waitcnt vmcnt(0)
	v_mul_f16_sdwa v11, v16, v37 dst_sel:DWORD dst_unused:UNUSED_PAD src0_sel:DWORD src1_sel:WORD_1
	v_mul_f16_sdwa v28, v18, v38 dst_sel:DWORD dst_unused:UNUSED_PAD src0_sel:DWORD src1_sel:WORD_1
	;; [unrolled: 1-line block ×4, first 2 shown]
	v_fma_f16 v42, v45, s3, v48
	v_fma_f16 v11, v25, v37, v11
	;; [unrolled: 1-line block ×9, first 2 shown]
	v_mul_f16_sdwa v27, v27, v38 dst_sel:DWORD dst_unused:UNUSED_PAD src0_sel:DWORD src1_sel:WORD_1
	v_mul_f16_sdwa v24, v24, v39 dst_sel:DWORD dst_unused:UNUSED_PAD src0_sel:DWORD src1_sel:WORD_1
	;; [unrolled: 1-line block ×3, first 2 shown]
	v_sub_f16_e32 v43, v28, v11
	v_sub_f16_e32 v44, v36, v35
	v_fma_f16 v18, v18, v38, -v27
	v_fma_f16 v24, v15, v39, -v24
	;; [unrolled: 1-line block ×3, first 2 shown]
	v_mul_f16_sdwa v25, v26, v40 dst_sel:DWORD dst_unused:UNUSED_PAD src0_sel:DWORD src1_sel:WORD_1
	v_add_f16_e32 v43, v43, v44
	v_add_f16_e32 v44, v11, v35
	v_sub_f16_e32 v15, v18, v24
	v_fma_f16 v17, v17, v40, -v25
	v_add_f16_e32 v26, v28, v36
	v_fma_f16 v44, v44, -0.5, v14
	v_sub_f16_e32 v25, v16, v17
	v_fma_f16 v26, v26, -0.5, v14
	v_sub_f16_e32 v37, v16, v18
	v_sub_f16_e32 v38, v17, v24
	v_fma_f16 v45, v15, s5, v44
	v_fma_f16 v44, v15, s6, v44
	v_sub_f16_e32 v34, v11, v28
	v_sub_f16_e32 v42, v35, v36
	v_fma_f16 v27, v25, s6, v26
	v_add_f16_e32 v37, v37, v38
	v_add_f16_e32 v38, v18, v24
	v_fma_f16 v45, v25, s3, v45
	v_fma_f16 v44, v25, s4, v44
	;; [unrolled: 1-line block ×3, first 2 shown]
	v_add_f16_e32 v34, v34, v42
	v_fma_f16 v27, v15, s3, v27
	v_fma_f16 v38, v38, -0.5, v6
	v_sub_f16_e32 v39, v11, v35
	v_fma_f16 v15, v15, s4, v25
	v_sub_f16_e32 v42, v28, v36
	v_fma_f16 v25, v34, s2, v15
	v_fma_f16 v15, v39, s6, v38
	;; [unrolled: 1-line block ×4, first 2 shown]
	v_add_f16_e32 v11, v14, v11
	v_mad_u64_u32 v[14:15], s[10:11], s20, v13, 0
	v_sub_f16_e32 v46, v18, v16
	v_sub_f16_e32 v47, v24, v17
	v_add_f16_e32 v11, v11, v28
	v_add_f16_e32 v46, v46, v47
	;; [unrolled: 1-line block ×4, first 2 shown]
	v_fma_f16 v47, v47, -0.5, v6
	v_add_f16_e32 v28, v35, v11
	v_add_f16_e32 v11, v6, v16
	v_mov_b32_e32 v6, v15
	v_mad_u64_u32 v[15:16], s[10:11], s21, v13, v[6:7]
	v_add_f16_e32 v6, v11, v18
	v_add_f16_e32 v6, v6, v24
	;; [unrolled: 1-line block ×3, first 2 shown]
	v_mov_b32_e32 v6, s15
	v_add_co_u32_e32 v11, vcc, s14, v9
	v_addc_co_u32_e32 v10, vcc, v6, v10, vcc
	v_lshlrev_b64 v[6:7], 2, v[7:8]
	v_add_u32_e32 v17, 0xbb, v13
	v_mad_u64_u32 v[8:9], s[10:11], s20, v17, 0
	v_add_co_u32_e32 v6, vcc, v11, v6
	v_addc_co_u32_e32 v7, vcc, v10, v7, vcc
	v_lshlrev_b64 v[10:11], 2, v[14:15]
	v_add_u32_e32 v18, 0x231, v13
	v_mad_u64_u32 v[14:15], s[10:11], s21, v17, v[9:10]
	v_add_co_u32_e32 v9, vcc, v6, v10
	v_addc_co_u32_e32 v10, vcc, v7, v11, vcc
	v_pack_b32_f16 v11, v16, v28
	global_store_dword v[9:10], v11, off
	v_mov_b32_e32 v9, v14
	v_add_u32_e32 v14, 0x176, v13
	v_mad_u64_u32 v[10:11], s[10:11], s20, v14, 0
	v_lshlrev_b64 v[8:9], 2, v[8:9]
	v_pack_b32_f16 v17, v26, v25
	v_mad_u64_u32 v[14:15], s[10:11], s21, v14, v[11:12]
	v_mad_u64_u32 v[15:16], s[10:11], s20, v18, 0
	v_add_co_u32_e32 v8, vcc, v6, v8
	v_addc_co_u32_e32 v9, vcc, v7, v9, vcc
	v_mov_b32_e32 v11, v14
	global_store_dword v[8:9], v17, off
	v_lshlrev_b64 v[8:9], 2, v[10:11]
	v_mov_b32_e32 v10, v16
	v_fma_f16 v45, v43, s2, v45
	v_fma_f16 v43, v43, s2, v44
	;; [unrolled: 1-line block ×3, first 2 shown]
	v_mad_u64_u32 v[10:11], s[10:11], s21, v18, v[10:11]
	v_fma_f16 v44, v39, s3, v44
	v_fma_f16 v44, v46, s2, v44
	v_add_co_u32_e32 v8, vcc, v6, v8
	v_addc_co_u32_e32 v9, vcc, v7, v9, vcc
	v_pack_b32_f16 v11, v44, v43
	v_add_u32_e32 v14, 0x2ec, v13
	global_store_dword v[8:9], v11, off
	v_mov_b32_e32 v16, v10
	v_mad_u64_u32 v[10:11], s[10:11], s20, v14, 0
	s_mov_b32 s10, 0xaf3addc7
	v_lshlrev_b64 v[8:9], 2, v[15:16]
	v_mul_hi_u32 v16, v41, s10
	v_mad_u64_u32 v[14:15], s[10:11], s21, v14, v[11:12]
	v_fma_f16 v48, v42, s6, v47
	v_lshrrev_b32_e32 v11, 7, v16
	v_mad_u32_u24 v18, v11, s7, v41
	v_mad_u64_u32 v[15:16], s[10:11], s20, v18, 0
	v_fma_f16 v48, v39, s4, v48
	v_fma_f16 v48, v46, s2, v48
	v_add_co_u32_e32 v8, vcc, v6, v8
	v_addc_co_u32_e32 v9, vcc, v7, v9, vcc
	v_pack_b32_f16 v17, v48, v45
	v_mov_b32_e32 v11, v14
	global_store_dword v[8:9], v17, off
	v_lshlrev_b64 v[8:9], 2, v[10:11]
	v_mov_b32_e32 v10, v16
	v_fma_f16 v40, v39, s5, v38
	v_mad_u64_u32 v[10:11], s[10:11], s21, v18, v[10:11]
	v_fma_f16 v40, v42, s4, v40
	v_fma_f16 v27, v34, s2, v27
	;; [unrolled: 1-line block ×3, first 2 shown]
	v_add_co_u32_e32 v8, vcc, v6, v8
	v_addc_co_u32_e32 v9, vcc, v7, v9, vcc
	v_pack_b32_f16 v11, v40, v27
	v_add_u32_e32 v14, 0xbb, v18
	global_store_dword v[8:9], v11, off
	v_mov_b32_e32 v16, v10
	v_mad_u64_u32 v[10:11], s[10:11], s20, v14, 0
	v_lshlrev_b64 v[8:9], 2, v[15:16]
	v_pack_b32_f16 v17, v20, v31
	v_mad_u64_u32 v[14:15], s[10:11], s21, v14, v[11:12]
	v_add_u32_e32 v20, 0x176, v18
	v_mad_u64_u32 v[15:16], s[10:11], s20, v20, 0
	v_add_co_u32_e32 v8, vcc, v6, v8
	v_addc_co_u32_e32 v9, vcc, v7, v9, vcc
	v_mov_b32_e32 v11, v14
	global_store_dword v[8:9], v17, off
	v_lshlrev_b64 v[8:9], 2, v[10:11]
	v_mov_b32_e32 v10, v16
	v_mad_u64_u32 v[10:11], s[10:11], s21, v20, v[10:11]
	v_add_co_u32_e32 v8, vcc, v6, v8
	v_addc_co_u32_e32 v9, vcc, v7, v9, vcc
	v_pack_b32_f16 v11, v33, v32
	v_add_u32_e32 v14, 0x231, v18
	global_store_dword v[8:9], v11, off
	v_mov_b32_e32 v16, v10
	v_mad_u64_u32 v[10:11], s[10:11], s20, v14, 0
	v_lshlrev_b64 v[8:9], 2, v[15:16]
	v_add_u32_e32 v18, 0x2ec, v18
	v_mad_u64_u32 v[14:15], s[10:11], s21, v14, v[11:12]
	v_mad_u64_u32 v[15:16], s[10:11], s20, v18, 0
	v_add_co_u32_e32 v8, vcc, v6, v8
	v_addc_co_u32_e32 v9, vcc, v7, v9, vcc
	v_pack_b32_f16 v17, v30, v29
	v_mov_b32_e32 v11, v14
	global_store_dword v[8:9], v17, off
	v_lshlrev_b64 v[8:9], 2, v[10:11]
	v_mov_b32_e32 v10, v16
	v_mad_u64_u32 v[10:11], s[10:11], s21, v18, v[10:11]
	v_add_co_u32_e32 v8, vcc, v6, v8
	v_addc_co_u32_e32 v9, vcc, v7, v9, vcc
	v_pack_b32_f16 v11, v22, v21
	v_mov_b32_e32 v16, v10
	global_store_dword v[8:9], v11, off
	v_lshlrev_b64 v[8:9], 2, v[15:16]
	v_pack_b32_f16 v10, v19, v23
	v_add_co_u32_e32 v8, vcc, v6, v8
	v_addc_co_u32_e32 v9, vcc, v7, v9, vcc
	global_store_dword v[8:9], v10, off
	s_and_b64 exec, exec, s[0:1]
	s_cbranch_execz .LBB0_21
; %bb.20:
	v_add_u32_e32 v16, 0xaa, v13
	v_subrev_u32_e32 v8, 17, v13
	v_cndmask_b32_e64 v8, v8, v16, s[0:1]
	v_lshlrev_b32_e32 v11, 2, v8
	v_lshlrev_b64 v[8:9], 2, v[11:12]
	v_mov_b32_e32 v10, s9
	v_add_co_u32_e32 v8, vcc, s8, v8
	v_addc_co_u32_e32 v9, vcc, v10, v9, vcc
	global_load_dwordx4 v[8:11], v[8:9], off offset:680
	v_mad_u64_u32 v[14:15], s[0:1], s20, v16, 0
	v_lshrrev_b32_e32 v17, 16, v1
	v_lshrrev_b32_e32 v18, 16, v5
	v_mov_b32_e32 v12, v15
	v_mad_u64_u32 v[15:16], s[0:1], s21, v16, v[12:13]
	v_lshrrev_b32_e32 v12, 16, v4
	v_lshrrev_b32_e32 v16, 16, v2
	s_waitcnt vmcnt(0)
	v_mul_f16_sdwa v19, v4, v8 dst_sel:DWORD dst_unused:UNUSED_PAD src0_sel:DWORD src1_sel:WORD_1
	v_mul_f16_sdwa v20, v1, v8 dst_sel:DWORD dst_unused:UNUSED_PAD src0_sel:DWORD src1_sel:WORD_1
	;; [unrolled: 1-line block ×8, first 2 shown]
	v_fma_f16 v1, v1, v8, -v19
	v_fma_f16 v4, v4, v8, v20
	v_fma_f16 v8, v17, v9, -v21
	v_fma_f16 v9, v12, v9, v22
	;; [unrolled: 2-line block ×4, first 2 shown]
	v_add_f16_e32 v12, v0, v1
	v_add_f16_e32 v16, v8, v2
	v_sub_f16_e32 v19, v1, v8
	v_sub_f16_e32 v20, v10, v2
	v_add_f16_e32 v21, v1, v10
	v_add_f16_e32 v25, v9, v5
	;; [unrolled: 1-line block ×3, first 2 shown]
	v_sub_f16_e32 v17, v4, v11
	v_sub_f16_e32 v18, v9, v5
	;; [unrolled: 1-line block ×4, first 2 shown]
	v_add_f16_e32 v24, v3, v4
	v_sub_f16_e32 v26, v8, v2
	v_add_f16_e32 v8, v12, v8
	v_fma_f16 v12, v16, -0.5, v0
	v_add_f16_e32 v16, v19, v20
	v_fma_f16 v0, v21, -0.5, v0
	v_fma_f16 v20, v25, -0.5, v3
	;; [unrolled: 1-line block ×3, first 2 shown]
	v_sub_f16_e32 v1, v1, v10
	v_sub_f16_e32 v27, v4, v9
	;; [unrolled: 1-line block ×4, first 2 shown]
	v_add_f16_e32 v19, v22, v23
	v_add_f16_e32 v9, v24, v9
	v_add_f16_e32 v2, v8, v2
	v_fma_f16 v8, v17, s6, v12
	v_fma_f16 v12, v17, s5, v12
	;; [unrolled: 1-line block ×6, first 2 shown]
	v_sub_f16_e32 v28, v11, v5
	v_add_f16_e32 v4, v4, v30
	v_add_f16_e32 v5, v9, v5
	v_fma_f16 v9, v1, s5, v20
	v_fma_f16 v20, v1, s6, v20
	v_add_f16_e32 v10, v2, v10
	v_fma_f16 v2, v18, s3, v8
	v_fma_f16 v8, v18, s4, v12
	;; [unrolled: 1-line block ×12, first 2 shown]
	v_add_u32_e32 v4, 0x165, v13
	v_mad_u64_u32 v[2:3], s[0:1], s20, v4, 0
	v_add_f16_e32 v5, v5, v11
	v_lshlrev_b64 v[0:1], 2, v[14:15]
	v_mad_u64_u32 v[3:4], s[0:1], s21, v4, v[3:4]
	v_or_b32_e32 v14, 0x220, v13
	v_pack_b32_f16 v10, v10, v5
	v_mad_u64_u32 v[4:5], s[0:1], s20, v14, 0
	v_add_co_u32_e32 v0, vcc, v6, v0
	v_addc_co_u32_e32 v1, vcc, v7, v1, vcc
	global_store_dword v[0:1], v10, off
	v_lshlrev_b64 v[0:1], 2, v[2:3]
	v_mov_b32_e32 v2, v5
	v_mad_u64_u32 v[2:3], s[0:1], s21, v14, v[2:3]
	v_add_f16_e32 v21, v27, v28
	v_fma_f16 v9, v26, s4, v9
	v_fma_f16 v9, v21, s2, v9
	v_add_co_u32_e32 v0, vcc, v6, v0
	v_addc_co_u32_e32 v1, vcc, v7, v1, vcc
	v_pack_b32_f16 v3, v18, v9
	v_mov_b32_e32 v5, v2
	global_store_dword v[0:1], v3, off
	v_lshlrev_b64 v[0:1], 2, v[4:5]
	v_add_u32_e32 v4, 0x2db, v13
	v_mad_u64_u32 v[2:3], s[0:1], s20, v4, 0
	v_add_u32_e32 v10, 0x396, v13
	v_add_co_u32_e32 v0, vcc, v6, v0
	v_mad_u64_u32 v[3:4], s[0:1], s21, v4, v[3:4]
	v_mad_u64_u32 v[4:5], s[0:1], s20, v10, 0
	v_addc_co_u32_e32 v1, vcc, v7, v1, vcc
	v_pack_b32_f16 v9, v12, v17
	global_store_dword v[0:1], v9, off
	v_lshlrev_b64 v[0:1], 2, v[2:3]
	v_mov_b32_e32 v2, v5
	v_mad_u64_u32 v[2:3], s[0:1], s21, v10, v[2:3]
	v_add_co_u32_e32 v0, vcc, v6, v0
	v_addc_co_u32_e32 v1, vcc, v7, v1, vcc
	v_pack_b32_f16 v3, v16, v19
	v_mov_b32_e32 v5, v2
	global_store_dword v[0:1], v3, off
	v_lshlrev_b64 v[0:1], 2, v[4:5]
	v_fma_f16 v11, v26, s3, v20
	v_fma_f16 v11, v21, s2, v11
	v_add_co_u32_e32 v0, vcc, v6, v0
	v_addc_co_u32_e32 v1, vcc, v7, v1, vcc
	v_pack_b32_f16 v2, v8, v11
	global_store_dword v[0:1], v2, off
.LBB0_21:
	s_endpgm
	.section	.rodata,"a",@progbits
	.p2align	6, 0x0
	.amdhsa_kernel fft_rtc_fwd_len935_factors_17_11_5_wgs_255_tpt_85_halfLds_half_op_CI_CI_sbrr_dirReg
		.amdhsa_group_segment_fixed_size 0
		.amdhsa_private_segment_fixed_size 0
		.amdhsa_kernarg_size 104
		.amdhsa_user_sgpr_count 6
		.amdhsa_user_sgpr_private_segment_buffer 1
		.amdhsa_user_sgpr_dispatch_ptr 0
		.amdhsa_user_sgpr_queue_ptr 0
		.amdhsa_user_sgpr_kernarg_segment_ptr 1
		.amdhsa_user_sgpr_dispatch_id 0
		.amdhsa_user_sgpr_flat_scratch_init 0
		.amdhsa_user_sgpr_private_segment_size 0
		.amdhsa_uses_dynamic_stack 0
		.amdhsa_system_sgpr_private_segment_wavefront_offset 0
		.amdhsa_system_sgpr_workgroup_id_x 1
		.amdhsa_system_sgpr_workgroup_id_y 0
		.amdhsa_system_sgpr_workgroup_id_z 0
		.amdhsa_system_sgpr_workgroup_info 0
		.amdhsa_system_vgpr_workitem_id 0
		.amdhsa_next_free_vgpr 93
		.amdhsa_next_free_sgpr 62
		.amdhsa_reserve_vcc 1
		.amdhsa_reserve_flat_scratch 0
		.amdhsa_float_round_mode_32 0
		.amdhsa_float_round_mode_16_64 0
		.amdhsa_float_denorm_mode_32 3
		.amdhsa_float_denorm_mode_16_64 3
		.amdhsa_dx10_clamp 1
		.amdhsa_ieee_mode 1
		.amdhsa_fp16_overflow 0
		.amdhsa_exception_fp_ieee_invalid_op 0
		.amdhsa_exception_fp_denorm_src 0
		.amdhsa_exception_fp_ieee_div_zero 0
		.amdhsa_exception_fp_ieee_overflow 0
		.amdhsa_exception_fp_ieee_underflow 0
		.amdhsa_exception_fp_ieee_inexact 0
		.amdhsa_exception_int_div_zero 0
	.end_amdhsa_kernel
	.text
.Lfunc_end0:
	.size	fft_rtc_fwd_len935_factors_17_11_5_wgs_255_tpt_85_halfLds_half_op_CI_CI_sbrr_dirReg, .Lfunc_end0-fft_rtc_fwd_len935_factors_17_11_5_wgs_255_tpt_85_halfLds_half_op_CI_CI_sbrr_dirReg
                                        ; -- End function
	.section	.AMDGPU.csdata,"",@progbits
; Kernel info:
; codeLenInByte = 12320
; NumSgprs: 66
; NumVgprs: 93
; ScratchSize: 0
; MemoryBound: 0
; FloatMode: 240
; IeeeMode: 1
; LDSByteSize: 0 bytes/workgroup (compile time only)
; SGPRBlocks: 8
; VGPRBlocks: 23
; NumSGPRsForWavesPerEU: 66
; NumVGPRsForWavesPerEU: 93
; Occupancy: 2
; WaveLimiterHint : 1
; COMPUTE_PGM_RSRC2:SCRATCH_EN: 0
; COMPUTE_PGM_RSRC2:USER_SGPR: 6
; COMPUTE_PGM_RSRC2:TRAP_HANDLER: 0
; COMPUTE_PGM_RSRC2:TGID_X_EN: 1
; COMPUTE_PGM_RSRC2:TGID_Y_EN: 0
; COMPUTE_PGM_RSRC2:TGID_Z_EN: 0
; COMPUTE_PGM_RSRC2:TIDIG_COMP_CNT: 0
	.type	__hip_cuid_41d4da0f25988506,@object ; @__hip_cuid_41d4da0f25988506
	.section	.bss,"aw",@nobits
	.globl	__hip_cuid_41d4da0f25988506
__hip_cuid_41d4da0f25988506:
	.byte	0                               ; 0x0
	.size	__hip_cuid_41d4da0f25988506, 1

	.ident	"AMD clang version 19.0.0git (https://github.com/RadeonOpenCompute/llvm-project roc-6.4.0 25133 c7fe45cf4b819c5991fe208aaa96edf142730f1d)"
	.section	".note.GNU-stack","",@progbits
	.addrsig
	.addrsig_sym __hip_cuid_41d4da0f25988506
	.amdgpu_metadata
---
amdhsa.kernels:
  - .args:
      - .actual_access:  read_only
        .address_space:  global
        .offset:         0
        .size:           8
        .value_kind:     global_buffer
      - .offset:         8
        .size:           8
        .value_kind:     by_value
      - .actual_access:  read_only
        .address_space:  global
        .offset:         16
        .size:           8
        .value_kind:     global_buffer
      - .actual_access:  read_only
        .address_space:  global
        .offset:         24
        .size:           8
        .value_kind:     global_buffer
      - .actual_access:  read_only
        .address_space:  global
        .offset:         32
        .size:           8
        .value_kind:     global_buffer
      - .offset:         40
        .size:           8
        .value_kind:     by_value
      - .actual_access:  read_only
        .address_space:  global
        .offset:         48
        .size:           8
        .value_kind:     global_buffer
      - .actual_access:  read_only
        .address_space:  global
        .offset:         56
        .size:           8
        .value_kind:     global_buffer
      - .offset:         64
        .size:           4
        .value_kind:     by_value
      - .actual_access:  read_only
        .address_space:  global
        .offset:         72
        .size:           8
        .value_kind:     global_buffer
      - .actual_access:  read_only
        .address_space:  global
        .offset:         80
        .size:           8
        .value_kind:     global_buffer
      - .actual_access:  read_only
        .address_space:  global
        .offset:         88
        .size:           8
        .value_kind:     global_buffer
      - .actual_access:  write_only
        .address_space:  global
        .offset:         96
        .size:           8
        .value_kind:     global_buffer
    .group_segment_fixed_size: 0
    .kernarg_segment_align: 8
    .kernarg_segment_size: 104
    .language:       OpenCL C
    .language_version:
      - 2
      - 0
    .max_flat_workgroup_size: 255
    .name:           fft_rtc_fwd_len935_factors_17_11_5_wgs_255_tpt_85_halfLds_half_op_CI_CI_sbrr_dirReg
    .private_segment_fixed_size: 0
    .sgpr_count:     66
    .sgpr_spill_count: 0
    .symbol:         fft_rtc_fwd_len935_factors_17_11_5_wgs_255_tpt_85_halfLds_half_op_CI_CI_sbrr_dirReg.kd
    .uniform_work_group_size: 1
    .uses_dynamic_stack: false
    .vgpr_count:     93
    .vgpr_spill_count: 0
    .wavefront_size: 64
amdhsa.target:   amdgcn-amd-amdhsa--gfx906
amdhsa.version:
  - 1
  - 2
...

	.end_amdgpu_metadata
